;; amdgpu-corpus repo=ROCm/rocFFT kind=compiled arch=gfx950 opt=O3
	.text
	.amdgcn_target "amdgcn-amd-amdhsa--gfx950"
	.amdhsa_code_object_version 6
	.protected	bluestein_single_fwd_len578_dim1_half_op_CI_CI ; -- Begin function bluestein_single_fwd_len578_dim1_half_op_CI_CI
	.globl	bluestein_single_fwd_len578_dim1_half_op_CI_CI
	.p2align	8
	.type	bluestein_single_fwd_len578_dim1_half_op_CI_CI,@function
bluestein_single_fwd_len578_dim1_half_op_CI_CI: ; @bluestein_single_fwd_len578_dim1_half_op_CI_CI
; %bb.0:
	s_load_dwordx4 s[16:19], s[0:1], 0x28
	v_mul_u32_u24_e32 v1, 0x788, v0
	v_lshrrev_b32_e32 v2, 16, v1
	v_mad_u64_u32 v[18:19], s[2:3], s2, 7, v[2:3]
	v_mov_b32_e32 v17, 0
	v_mov_b32_e32 v19, v17
	s_waitcnt lgkmcnt(0)
	v_cmp_gt_u64_e32 vcc, s[16:17], v[18:19]
	s_and_saveexec_b64 s[2:3], vcc
	s_cbranch_execz .LBB0_10
; %bb.1:
	s_load_dwordx4 s[4:7], s[0:1], 0x18
	s_load_dwordx4 s[8:11], s[0:1], 0x0
	v_mul_lo_u16_e32 v1, 34, v2
	v_sub_u16_e32 v16, v0, v1
	v_mov_b32_e32 v4, s18
	s_waitcnt lgkmcnt(0)
	s_load_dwordx4 s[12:15], s[4:5], 0x0
	v_mov_b32_e32 v5, s19
	v_lshlrev_b32_e32 v20, 2, v16
	global_load_dword v56, v20, s[8:9]
	s_mov_b32 s16, 0xbacd
	s_waitcnt lgkmcnt(0)
	v_mad_u64_u32 v[0:1], s[2:3], s14, v18, 0
	v_mov_b32_e32 v2, v1
	v_mad_u64_u32 v[2:3], s[2:3], s15, v18, v[2:3]
	v_mov_b32_e32 v1, v2
	;; [unrolled: 2-line block ×4, first 2 shown]
	v_lshl_add_u64 v[0:1], v[0:1], 2, v[4:5]
	v_lshl_add_u64 v[0:1], v[2:3], 2, v[0:1]
	v_mov_b32_e32 v3, 0x88
	global_load_dword v2, v[0:1], off
	v_mad_u64_u32 v[0:1], s[2:3], s12, v3, v[0:1]
	s_mul_i32 s2, s13, 0x88
	s_nop 0
	v_add_u32_e32 v1, s2, v1
	global_load_dword v4, v[0:1], off
	global_load_dword v55, v20, s[8:9] offset:136
	v_mad_u64_u32 v[0:1], s[4:5], s12, v3, v[0:1]
	v_add_u32_e32 v1, s2, v1
	global_load_dword v5, v[0:1], off
	global_load_dword v54, v20, s[8:9] offset:272
	v_mad_u64_u32 v[0:1], s[4:5], s12, v3, v[0:1]
	v_add_u32_e32 v1, s2, v1
	global_load_dword v6, v[0:1], off
	global_load_dword v53, v20, s[8:9] offset:408
	s_mov_b32 s3, 0x24924925
	v_mul_hi_u32 v7, v18, s3
	v_sub_u32_e32 v8, v18, v7
	v_lshrrev_b32_e32 v8, 1, v8
	v_add_u32_e32 v7, v8, v7
	v_lshrrev_b32_e32 v7, 2, v7
	v_mul_lo_u32 v7, v7, 7
	v_sub_u32_e32 v7, v18, v7
	v_mad_u64_u32 v[0:1], s[14:15], s12, v3, v[0:1]
	v_mul_u32_u24_e32 v7, 0x242, v7
	v_add_u32_e32 v1, s2, v1
	s_load_dwordx4 s[4:7], s[6:7], 0x0
	global_load_dword v52, v20, s[8:9] offset:544
	global_load_dword v51, v20, s[8:9] offset:680
	;; [unrolled: 1-line block ×4, first 2 shown]
	v_lshlrev_b32_e32 v57, 2, v7
	global_load_dword v7, v[0:1], off
	v_mad_u64_u32 v[0:1], s[14:15], s12, v3, v[0:1]
	v_add_u32_e32 v1, s2, v1
	global_load_dword v8, v[0:1], off
	v_mad_u64_u32 v[0:1], s[14:15], s12, v3, v[0:1]
	v_add_u32_e32 v1, s2, v1
	;; [unrolled: 3-line block ×4, first 2 shown]
	global_load_dword v11, v[0:1], off
	v_mad_u64_u32 v[0:1], s[14:15], s12, v3, v[0:1]
	global_load_dword v49, v20, s[8:9] offset:1088
	global_load_dword v47, v20, s[8:9] offset:1224
	v_add_u32_e32 v1, s2, v1
	global_load_dword v12, v[0:1], off
	v_add_u32_e32 v19, v20, v57
	v_mad_u64_u32 v[0:1], s[14:15], s12, v3, v[0:1]
	v_add_u32_e32 v1, s2, v1
	v_add_u32_e32 v21, 0x400, v19
	s_movk_i32 s3, 0x39e9
	s_mov_b32 s17, 0xbbdd
	s_movk_i32 s18, 0xffef
	s_mov_b32 s19, -1
	v_cmp_gt_u16_e32 vcc, 17, v16
	s_waitcnt vmcnt(18)
	v_lshrrev_b32_e32 v13, 16, v2
	v_mul_f16_sdwa v14, v56, v2 dst_sel:DWORD dst_unused:UNUSED_PAD src0_sel:WORD_1 src1_sel:DWORD
	v_mul_f16_sdwa v15, v56, v13 dst_sel:DWORD dst_unused:UNUSED_PAD src0_sel:WORD_1 src1_sel:DWORD
	v_fma_f16 v13, v56, v13, -v14
	v_fma_f16 v2, v56, v2, v15
	s_waitcnt vmcnt(17)
	v_lshrrev_b32_e32 v14, 16, v4
	s_waitcnt vmcnt(16)
	v_mul_f16_sdwa v15, v55, v4 dst_sel:DWORD dst_unused:UNUSED_PAD src0_sel:WORD_1 src1_sel:DWORD
	v_pack_b32_f16 v2, v2, v13
	v_mul_f16_sdwa v13, v55, v14 dst_sel:DWORD dst_unused:UNUSED_PAD src0_sel:WORD_1 src1_sel:DWORD
	v_fma_f16 v14, v55, v14, -v15
	v_fma_f16 v4, v55, v4, v13
	v_pack_b32_f16 v4, v4, v14
	ds_write2_b32 v19, v2, v4 offset1:34
	global_load_dword v4, v[0:1], off
	global_load_dword v46, v20, s[8:9] offset:1360
	s_waitcnt vmcnt(17)
	v_lshrrev_b32_e32 v13, 16, v5
	v_mad_u64_u32 v[0:1], s[14:15], s12, v3, v[0:1]
	s_waitcnt vmcnt(16)
	v_mul_f16_sdwa v14, v54, v13 dst_sel:DWORD dst_unused:UNUSED_PAD src0_sel:WORD_1 src1_sel:DWORD
	v_add_u32_e32 v1, s2, v1
	v_mul_f16_sdwa v15, v54, v5 dst_sel:DWORD dst_unused:UNUSED_PAD src0_sel:WORD_1 src1_sel:DWORD
	v_fma_f16 v2, v54, v5, v14
	global_load_dword v5, v[0:1], off
	global_load_dword v45, v20, s[8:9] offset:1496
	v_mad_u64_u32 v[0:1], s[14:15], s12, v3, v[0:1]
	v_add_u32_e32 v1, s2, v1
	v_fma_f16 v13, v54, v13, -v15
	global_load_dword v15, v[0:1], off
	global_load_dword v44, v20, s[8:9] offset:1632
	v_mad_u64_u32 v[0:1], s[14:15], s12, v3, v[0:1]
	v_add_u32_e32 v1, s2, v1
	global_load_dword v22, v[0:1], off
	global_load_dword v43, v20, s[8:9] offset:1768
	v_pack_b32_f16 v2, v2, v13
	s_waitcnt vmcnt(21)
	v_lshrrev_b32_e32 v13, 16, v6
	s_waitcnt vmcnt(20)
	v_mul_f16_sdwa v14, v53, v13 dst_sel:DWORD dst_unused:UNUSED_PAD src0_sel:WORD_1 src1_sel:DWORD
	v_mad_u64_u32 v[0:1], s[14:15], s12, v3, v[0:1]
	v_fma_f16 v14, v53, v6, v14
	v_mul_f16_sdwa v6, v53, v6 dst_sel:DWORD dst_unused:UNUSED_PAD src0_sel:WORD_1 src1_sel:DWORD
	v_add_u32_e32 v1, s2, v1
	v_fma_f16 v6, v53, v13, -v6
	global_load_dword v13, v[0:1], off
	global_load_dword v42, v20, s[8:9] offset:1904
	v_mad_u64_u32 v[0:1], s[14:15], s12, v3, v[0:1]
	v_add_u32_e32 v1, s2, v1
	v_pack_b32_f16 v6, v14, v6
	global_load_dword v14, v[0:1], off
	global_load_dword v41, v20, s[8:9] offset:2040
	v_mad_u64_u32 v[0:1], s[12:13], s12, v3, v[0:1]
	ds_write2_b32 v19, v2, v6 offset0:68 offset1:102
	v_add_u32_e32 v1, s2, v1
	global_load_dword v3, v[0:1], off
	global_load_dword v40, v20, s[8:9] offset:2176
	s_waitcnt vmcnt(21)
	v_lshrrev_b32_e32 v2, 16, v7
	v_mul_f16_sdwa v0, v52, v2 dst_sel:DWORD dst_unused:UNUSED_PAD src0_sel:WORD_1 src1_sel:DWORD
	v_mul_f16_sdwa v1, v52, v7 dst_sel:DWORD dst_unused:UNUSED_PAD src0_sel:WORD_1 src1_sel:DWORD
	v_fma_f16 v0, v52, v7, v0
	v_fma_f16 v1, v52, v2, -v1
	v_pack_b32_f16 v0, v0, v1
	s_waitcnt vmcnt(20)
	v_lshrrev_b32_e32 v1, 16, v8
	v_mul_f16_sdwa v2, v51, v1 dst_sel:DWORD dst_unused:UNUSED_PAD src0_sel:WORD_1 src1_sel:DWORD
	v_mul_f16_sdwa v6, v51, v8 dst_sel:DWORD dst_unused:UNUSED_PAD src0_sel:WORD_1 src1_sel:DWORD
	v_fma_f16 v2, v51, v8, v2
	v_fma_f16 v1, v51, v1, -v6
	v_pack_b32_f16 v1, v2, v1
	ds_write2_b32 v19, v0, v1 offset0:136 offset1:170
	s_waitcnt vmcnt(19)
	v_lshrrev_b32_e32 v0, 16, v9
	v_mul_f16_sdwa v1, v50, v0 dst_sel:DWORD dst_unused:UNUSED_PAD src0_sel:WORD_1 src1_sel:DWORD
	v_mul_f16_sdwa v2, v50, v9 dst_sel:DWORD dst_unused:UNUSED_PAD src0_sel:WORD_1 src1_sel:DWORD
	v_fma_f16 v1, v50, v9, v1
	v_fma_f16 v0, v50, v0, -v2
	v_pack_b32_f16 v0, v1, v0
	s_waitcnt vmcnt(18)
	v_lshrrev_b32_e32 v1, 16, v10
	v_mul_f16_sdwa v2, v48, v1 dst_sel:DWORD dst_unused:UNUSED_PAD src0_sel:WORD_1 src1_sel:DWORD
	v_mul_f16_sdwa v6, v48, v10 dst_sel:DWORD dst_unused:UNUSED_PAD src0_sel:WORD_1 src1_sel:DWORD
	v_fma_f16 v2, v48, v10, v2
	v_fma_f16 v1, v48, v1, -v6
	v_pack_b32_f16 v1, v2, v1
	ds_write2_b32 v19, v0, v1 offset0:204 offset1:238
	s_waitcnt vmcnt(17)
	v_lshrrev_b32_e32 v0, 16, v11
	s_waitcnt vmcnt(16)
	v_mul_f16_sdwa v1, v49, v0 dst_sel:DWORD dst_unused:UNUSED_PAD src0_sel:WORD_1 src1_sel:DWORD
	v_mul_f16_sdwa v2, v49, v11 dst_sel:DWORD dst_unused:UNUSED_PAD src0_sel:WORD_1 src1_sel:DWORD
	v_fma_f16 v1, v49, v11, v1
	v_fma_f16 v0, v49, v0, -v2
	v_pack_b32_f16 v0, v1, v0
	s_waitcnt vmcnt(14)
	v_lshrrev_b32_e32 v1, 16, v12
	v_mul_f16_sdwa v2, v47, v1 dst_sel:DWORD dst_unused:UNUSED_PAD src0_sel:WORD_1 src1_sel:DWORD
	v_mul_f16_sdwa v6, v47, v12 dst_sel:DWORD dst_unused:UNUSED_PAD src0_sel:WORD_1 src1_sel:DWORD
	v_fma_f16 v2, v47, v12, v2
	v_fma_f16 v1, v47, v1, -v6
	v_pack_b32_f16 v1, v2, v1
	ds_write2_b32 v21, v0, v1 offset0:16 offset1:50
	s_movk_i32 s14, 0x3b76
	s_movk_i32 s2, 0x3722
	s_waitcnt vmcnt(13)
	v_lshrrev_b32_e32 v0, 16, v4
	s_waitcnt vmcnt(12)
	v_mul_f16_sdwa v1, v46, v0 dst_sel:DWORD dst_unused:UNUSED_PAD src0_sel:WORD_1 src1_sel:DWORD
	v_mul_f16_sdwa v2, v46, v4 dst_sel:DWORD dst_unused:UNUSED_PAD src0_sel:WORD_1 src1_sel:DWORD
	v_fma_f16 v1, v46, v4, v1
	v_fma_f16 v0, v46, v0, -v2
	v_pack_b32_f16 v0, v1, v0
	s_movk_i32 s12, 0x2de8
	s_mov_b32 s13, 0xb461
	s_waitcnt vmcnt(11)
	v_lshrrev_b32_e32 v1, 16, v5
	s_waitcnt vmcnt(10)
	v_mul_f16_sdwa v2, v45, v1 dst_sel:DWORD dst_unused:UNUSED_PAD src0_sel:WORD_1 src1_sel:DWORD
	v_mul_f16_sdwa v4, v45, v5 dst_sel:DWORD dst_unused:UNUSED_PAD src0_sel:WORD_1 src1_sel:DWORD
	v_fma_f16 v2, v45, v5, v2
	v_fma_f16 v1, v45, v1, -v4
	v_pack_b32_f16 v1, v2, v1
	ds_write2_b32 v21, v0, v1 offset0:84 offset1:118
	s_waitcnt vmcnt(9)
	v_lshrrev_b32_e32 v0, 16, v15
	s_waitcnt vmcnt(8)
	v_mul_f16_sdwa v1, v44, v0 dst_sel:DWORD dst_unused:UNUSED_PAD src0_sel:WORD_1 src1_sel:DWORD
	v_mul_f16_sdwa v2, v44, v15 dst_sel:DWORD dst_unused:UNUSED_PAD src0_sel:WORD_1 src1_sel:DWORD
	v_fma_f16 v1, v44, v15, v1
	v_fma_f16 v0, v44, v0, -v2
	v_pack_b32_f16 v0, v1, v0
	s_waitcnt vmcnt(7)
	v_lshrrev_b32_e32 v1, 16, v22
	s_waitcnt vmcnt(6)
	v_mul_f16_sdwa v2, v43, v1 dst_sel:DWORD dst_unused:UNUSED_PAD src0_sel:WORD_1 src1_sel:DWORD
	v_mul_f16_sdwa v4, v43, v22 dst_sel:DWORD dst_unused:UNUSED_PAD src0_sel:WORD_1 src1_sel:DWORD
	v_fma_f16 v2, v43, v22, v2
	v_fma_f16 v1, v43, v1, -v4
	v_pack_b32_f16 v1, v2, v1
	ds_write2_b32 v21, v0, v1 offset0:152 offset1:186
	s_waitcnt vmcnt(5)
	v_lshrrev_b32_e32 v0, 16, v13
	s_waitcnt vmcnt(4)
	v_mul_f16_sdwa v1, v42, v0 dst_sel:DWORD dst_unused:UNUSED_PAD src0_sel:WORD_1 src1_sel:DWORD
	v_mul_f16_sdwa v2, v42, v13 dst_sel:DWORD dst_unused:UNUSED_PAD src0_sel:WORD_1 src1_sel:DWORD
	v_fma_f16 v1, v42, v13, v1
	v_fma_f16 v0, v42, v0, -v2
	v_pack_b32_f16 v0, v1, v0
	;; [unrolled: 17-line block ×3, first 2 shown]
	ds_write_b32 v19, v0 offset:2176
	s_waitcnt lgkmcnt(0)
	s_barrier
	ds_read2_b32 v[22:23], v19 offset1:34
	ds_read2_b32 v[10:11], v19 offset0:68 offset1:102
	ds_read2_b32 v[6:7], v19 offset0:136 offset1:170
	;; [unrolled: 1-line block ×7, first 2 shown]
	ds_read_b32 v24, v19 offset:2176
	s_waitcnt lgkmcnt(8)
	v_add_f16_e32 v14, v22, v23
	v_add_f16_sdwa v15, v22, v23 dst_sel:DWORD dst_unused:UNUSED_PAD src0_sel:WORD_1 src1_sel:WORD_1
	s_waitcnt lgkmcnt(7)
	v_add_f16_e32 v14, v14, v10
	v_add_f16_sdwa v15, v15, v10 dst_sel:DWORD dst_unused:UNUSED_PAD src0_sel:DWORD src1_sel:WORD_1
	v_add_f16_e32 v14, v14, v11
	v_add_f16_sdwa v15, v15, v11 dst_sel:DWORD dst_unused:UNUSED_PAD src0_sel:DWORD src1_sel:WORD_1
	s_waitcnt lgkmcnt(6)
	v_add_f16_e32 v14, v14, v6
	v_add_f16_sdwa v15, v15, v6 dst_sel:DWORD dst_unused:UNUSED_PAD src0_sel:DWORD src1_sel:WORD_1
	v_add_f16_e32 v14, v14, v7
	v_add_f16_sdwa v15, v15, v7 dst_sel:DWORD dst_unused:UNUSED_PAD src0_sel:DWORD src1_sel:WORD_1
	;; [unrolled: 5-line block ×7, first 2 shown]
	s_waitcnt lgkmcnt(0)
	v_add_f16_e32 v25, v24, v23
	v_add_f16_sdwa v26, v24, v23 dst_sel:DWORD dst_unused:UNUSED_PAD src0_sel:WORD_1 src1_sel:WORD_1
	v_sub_f16_e32 v27, v23, v24
	v_sub_f16_sdwa v23, v23, v24 dst_sel:DWORD dst_unused:UNUSED_PAD src0_sel:WORD_1 src1_sel:WORD_1
	v_add_f16_e32 v14, v14, v24
	v_add_f16_sdwa v15, v15, v24 dst_sel:DWORD dst_unused:UNUSED_PAD src0_sel:DWORD src1_sel:WORD_1
	v_mul_f16_e32 v24, 0xb5c8, v23
	v_mul_f16_e32 v29, 0xb5c8, v27
	;; [unrolled: 1-line block ×11, first 2 shown]
	s_mov_b32 s15, 0xb8d2
	v_mul_f16_e32 v67, 0xba62, v27
	v_mul_f16_e32 v69, 0xb836, v23
	;; [unrolled: 1-line block ×5, first 2 shown]
	v_fma_f16 v28, v25, s14, -v24
	v_fma_f16 v30, v26, s14, v29
	v_fma_f16 v24, v25, s14, v24
	v_fma_f16 v29, v26, s14, -v29
	v_fma_f16 v32, v25, s3, -v31
	v_fma_f16 v34, v26, s3, v33
	v_fma_f16 v31, v25, s3, v31
	v_fma_f16 v33, v26, s3, -v33
	;; [unrolled: 4-line block ×8, first 2 shown]
	v_add_f16_e32 v28, v22, v28
	v_add_f16_sdwa v30, v22, v30 dst_sel:DWORD dst_unused:UNUSED_PAD src0_sel:WORD_1 src1_sel:DWORD
	v_add_f16_e32 v24, v22, v24
	v_add_f16_sdwa v29, v22, v29 dst_sel:DWORD dst_unused:UNUSED_PAD src0_sel:WORD_1 src1_sel:DWORD
	;; [unrolled: 2-line block ×16, first 2 shown]
	v_add_f16_e32 v25, v13, v10
	v_add_f16_sdwa v26, v13, v10 dst_sel:DWORD dst_unused:UNUSED_PAD src0_sel:WORD_1 src1_sel:WORD_1
	v_sub_f16_e32 v27, v10, v13
	v_sub_f16_sdwa v10, v10, v13 dst_sel:DWORD dst_unused:UNUSED_PAD src0_sel:WORD_1 src1_sel:WORD_1
	v_mul_f16_e32 v13, 0xb964, v10
	v_fma_f16 v75, v25, s3, -v13
	v_add_f16_e32 v28, v75, v28
	v_mul_f16_e32 v75, 0xb964, v27
	v_fma_f16 v13, v25, s3, v13
	v_add_f16_e32 v13, v13, v24
	v_fma_f16 v24, v26, s3, -v75
	v_add_f16_e32 v24, v24, v29
	v_mul_f16_e32 v29, 0xbbf7, v10
	v_fma_f16 v76, v26, s3, v75
	v_fma_f16 v75, v25, s12, -v29
	v_add_f16_e32 v32, v75, v32
	v_mul_f16_e32 v75, 0xbbf7, v27
	v_fma_f16 v29, v25, s12, v29
	v_add_f16_e32 v29, v29, v31
	v_fma_f16 v31, v26, s12, -v75
	v_add_f16_e32 v31, v31, v33
	v_mul_f16_e32 v33, 0xba62, v10
	v_add_f16_e32 v30, v76, v30
	v_fma_f16 v76, v26, s12, v75
	v_fma_f16 v75, v25, s15, -v33
	v_add_f16_e32 v36, v75, v36
	v_mul_f16_e32 v75, 0xba62, v27
	v_fma_f16 v33, v25, s15, v33
	v_add_f16_e32 v33, v33, v35
	v_fma_f16 v35, v26, s15, -v75
	v_add_f16_e32 v35, v35, v37
	v_mul_f16_e32 v37, 0xb1e1, v10
	v_add_f16_e32 v34, v76, v34
	;; [unrolled: 10-line block ×5, first 2 shown]
	v_fma_f16 v76, v26, s13, v75
	v_fma_f16 v75, v25, s2, -v67
	v_add_f16_e32 v70, v75, v70
	v_mul_f16_e32 v75, 0x3b29, v27
	v_fma_f16 v67, v25, s2, v67
	v_add_f16_e32 v67, v67, v69
	v_fma_f16 v69, v26, s2, -v75
	v_mul_f16_e32 v10, 0x35c8, v10
	v_add_f16_e32 v69, v69, v71
	v_fma_f16 v71, v25, s14, -v10
	v_mul_f16_e32 v27, 0x35c8, v27
	v_fma_f16 v10, v25, s14, v10
	v_add_f16_e32 v10, v10, v23
	v_fma_f16 v23, v26, s14, -v27
	v_add_f16_e32 v68, v76, v68
	v_fma_f16 v76, v26, s2, v75
	v_add_f16_e32 v71, v71, v73
	v_fma_f16 v73, v26, s14, v27
	v_add_f16_e32 v22, v23, v22
	v_add_f16_e32 v23, v12, v11
	v_add_f16_sdwa v25, v12, v11 dst_sel:DWORD dst_unused:UNUSED_PAD src0_sel:WORD_1 src1_sel:WORD_1
	v_sub_f16_e32 v26, v11, v12
	v_sub_f16_sdwa v11, v11, v12 dst_sel:DWORD dst_unused:UNUSED_PAD src0_sel:WORD_1 src1_sel:WORD_1
	v_mul_f16_e32 v12, 0xbb29, v11
	v_fma_f16 v27, v23, s2, -v12
	v_add_f16_e32 v27, v27, v28
	v_mul_f16_e32 v28, 0xbb29, v26
	v_fma_f16 v12, v23, s2, v12
	v_add_f16_e32 v12, v12, v13
	v_fma_f16 v13, v25, s2, -v28
	v_add_f16_e32 v13, v13, v24
	v_mul_f16_e32 v24, 0xba62, v11
	v_add_f16_e32 v73, v73, v74
	v_fma_f16 v74, v25, s2, v28
	v_fma_f16 v28, v23, s15, -v24
	v_add_f16_e32 v28, v28, v32
	v_mul_f16_e32 v32, 0xba62, v26
	v_fma_f16 v24, v23, s15, v24
	v_add_f16_e32 v24, v24, v29
	v_fma_f16 v29, v25, s15, -v32
	v_add_f16_e32 v29, v29, v31
	v_mul_f16_e32 v31, 0x31e1, v11
	v_add_f16_e32 v30, v74, v30
	v_fma_f16 v74, v25, s15, v32
	;; [unrolled: 10-line block ×6, first 2 shown]
	v_fma_f16 v66, v23, s12, -v65
	v_add_f16_e32 v66, v66, v70
	v_mul_f16_e32 v70, 0xbbf7, v26
	v_fma_f16 v65, v23, s12, v65
	v_add_f16_e32 v65, v65, v67
	v_fma_f16 v67, v25, s12, -v70
	v_mul_f16_e32 v11, 0xb836, v11
	v_add_f16_e32 v67, v67, v69
	v_fma_f16 v69, v23, s16, -v11
	v_mul_f16_e32 v26, 0xb836, v26
	v_fma_f16 v11, v23, s16, v11
	v_add_f16_e32 v10, v11, v10
	v_fma_f16 v11, v25, s16, -v26
	v_add_f16_e32 v68, v74, v68
	v_fma_f16 v74, v25, s12, v70
	v_fma_f16 v70, v25, s16, v26
	v_add_f16_e32 v11, v11, v22
	v_add_f16_e32 v22, v9, v6
	v_add_f16_sdwa v23, v9, v6 dst_sel:DWORD dst_unused:UNUSED_PAD src0_sel:WORD_1 src1_sel:WORD_1
	v_sub_f16_e32 v25, v6, v9
	v_sub_f16_sdwa v6, v6, v9 dst_sel:DWORD dst_unused:UNUSED_PAD src0_sel:WORD_1 src1_sel:WORD_1
	v_mul_f16_e32 v9, 0xbbf7, v6
	v_fma_f16 v26, v22, s12, -v9
	v_add_f16_e32 v26, v26, v27
	v_mul_f16_e32 v27, 0xbbf7, v25
	v_fma_f16 v9, v22, s12, v9
	v_add_f16_e32 v9, v9, v12
	v_fma_f16 v12, v23, s12, -v27
	v_add_f16_e32 v12, v12, v13
	v_mul_f16_e32 v13, 0xb1e1, v6
	v_add_f16_e32 v69, v69, v71
	v_fma_f16 v71, v23, s12, v27
	v_fma_f16 v27, v22, s17, -v13
	v_add_f16_e32 v27, v27, v28
	v_mul_f16_e32 v28, 0xb1e1, v25
	v_fma_f16 v13, v22, s17, v13
	v_add_f16_e32 v30, v71, v30
	v_fma_f16 v71, v23, s17, v28
	v_add_f16_e32 v13, v13, v24
	v_fma_f16 v24, v23, s17, -v28
	v_mul_f16_e32 v28, 0x3bb2, v6
	v_add_f16_e32 v24, v24, v29
	v_fma_f16 v29, v22, s13, -v28
	v_add_f16_e32 v29, v29, v32
	v_mul_f16_e32 v32, 0x3bb2, v25
	v_fma_f16 v28, v22, s13, v28
	v_add_f16_e32 v34, v71, v34
	v_fma_f16 v71, v23, s13, v32
	v_add_f16_e32 v28, v28, v31
	v_fma_f16 v31, v23, s13, -v32
	v_mul_f16_e32 v32, 0x35c8, v6
	v_add_f16_e32 v31, v31, v33
	;; [unrolled: 10-line block ×5, first 2 shown]
	v_fma_f16 v63, v22, s15, -v62
	v_add_f16_e32 v63, v63, v66
	v_mul_f16_e32 v66, 0x3a62, v25
	v_fma_f16 v62, v22, s15, v62
	v_mul_f16_e32 v6, 0x3964, v6
	v_add_f16_e32 v68, v71, v68
	v_fma_f16 v71, v23, s15, v66
	v_add_f16_e32 v62, v62, v65
	v_fma_f16 v65, v23, s15, -v66
	v_fma_f16 v66, v22, s3, -v6
	v_mul_f16_e32 v25, 0x3964, v25
	v_fma_f16 v6, v22, s3, v6
	v_add_f16_e32 v6, v6, v10
	v_fma_f16 v10, v23, s3, -v25
	v_add_f16_e32 v65, v65, v67
	v_fma_f16 v67, v23, s3, v25
	v_add_f16_e32 v10, v10, v11
	v_add_f16_e32 v11, v8, v7
	v_add_f16_sdwa v22, v8, v7 dst_sel:DWORD dst_unused:UNUSED_PAD src0_sel:WORD_1 src1_sel:WORD_1
	v_sub_f16_e32 v23, v7, v8
	v_sub_f16_sdwa v7, v7, v8 dst_sel:DWORD dst_unused:UNUSED_PAD src0_sel:WORD_1 src1_sel:WORD_1
	v_mul_f16_e32 v8, 0xbbb2, v7
	v_fma_f16 v25, v11, s13, -v8
	v_add_f16_e32 v25, v25, v26
	v_mul_f16_e32 v26, 0xbbb2, v23
	v_fma_f16 v8, v11, s13, v8
	v_add_f16_e32 v8, v8, v9
	v_fma_f16 v9, v22, s13, -v26
	v_add_f16_e32 v9, v9, v12
	v_mul_f16_e32 v12, 0x3836, v7
	v_add_f16_e32 v66, v66, v69
	v_fma_f16 v69, v22, s13, v26
	v_fma_f16 v26, v11, s16, -v12
	v_add_f16_e32 v26, v26, v27
	v_mul_f16_e32 v27, 0x3836, v23
	v_fma_f16 v12, v11, s16, v12
	v_add_f16_e32 v12, v12, v13
	v_fma_f16 v13, v22, s16, -v27
	v_add_f16_e32 v13, v13, v24
	v_mul_f16_e32 v24, 0x3964, v7
	v_add_f16_e32 v30, v69, v30
	v_fma_f16 v69, v22, s16, v27
	v_fma_f16 v27, v11, s3, -v24
	v_add_f16_e32 v27, v27, v29
	v_mul_f16_e32 v29, 0x3964, v23
	v_fma_f16 v24, v11, s3, v24
	v_add_f16_e32 v34, v69, v34
	v_fma_f16 v69, v22, s3, v29
	v_add_f16_e32 v24, v24, v28
	v_fma_f16 v28, v22, s3, -v29
	v_mul_f16_e32 v29, 0xbb29, v7
	v_add_f16_e32 v28, v28, v31
	v_fma_f16 v31, v11, s2, -v29
	v_add_f16_e32 v31, v31, v33
	v_mul_f16_e32 v33, 0xbb29, v23
	v_fma_f16 v29, v11, s2, v29
	v_add_f16_e32 v38, v69, v38
	v_fma_f16 v69, v22, s2, v33
	v_add_f16_e32 v29, v29, v32
	v_fma_f16 v32, v22, s2, -v33
	v_mul_f16_e32 v33, 0xb1e1, v7
	v_add_f16_e32 v32, v32, v35
	;; [unrolled: 10-line block ×4, first 2 shown]
	v_fma_f16 v61, v11, s14, -v59
	v_add_f16_e32 v61, v61, v63
	v_mul_f16_e32 v63, 0xb5c8, v23
	v_fma_f16 v59, v11, s14, v59
	v_mul_f16_e32 v7, 0xba62, v7
	v_add_f16_e32 v72, v76, v72
	v_add_f16_e32 v70, v70, v73
	;; [unrolled: 1-line block ×3, first 2 shown]
	v_fma_f16 v69, v22, s14, v63
	v_add_f16_e32 v59, v59, v62
	v_fma_f16 v62, v22, s14, -v63
	v_fma_f16 v63, v11, s15, -v7
	v_mul_f16_e32 v23, 0xba62, v23
	v_fma_f16 v7, v11, s15, v7
	v_add_f16_e32 v72, v74, v72
	v_add_f16_e32 v67, v67, v70
	v_add_f16_e32 v62, v62, v65
	v_add_f16_e32 v63, v63, v66
	v_fma_f16 v65, v22, s15, v23
	v_add_f16_e32 v66, v7, v6
	v_fma_f16 v6, v22, s15, -v23
	v_sub_f16_sdwa v73, v2, v5 dst_sel:DWORD dst_unused:UNUSED_PAD src0_sel:WORD_1 src1_sel:WORD_1
	v_add_f16_e32 v71, v71, v72
	v_add_f16_e32 v65, v65, v67
	;; [unrolled: 1-line block ×4, first 2 shown]
	v_sub_f16_e32 v72, v2, v5
	v_mul_f16_e32 v6, 0xba62, v73
	v_add_f16_e32 v69, v69, v71
	v_add_f16_sdwa v71, v5, v2 dst_sel:DWORD dst_unused:UNUSED_PAD src0_sel:WORD_1 src1_sel:WORD_1
	v_fma_f16 v2, v70, s15, -v6
	v_mul_f16_e32 v7, 0xba62, v72
	v_fma_f16 v6, v70, s15, v6
	v_mul_f16_e32 v10, 0x3bb2, v73
	v_fma_f16 v5, v71, s15, v7
	v_add_f16_e32 v6, v6, v8
	v_fma_f16 v7, v71, s15, -v7
	v_fma_f16 v8, v70, s13, -v10
	v_mul_f16_e32 v11, 0x3bb2, v72
	v_fma_f16 v10, v70, s13, v10
	v_mul_f16_e32 v22, 0xb5c8, v73
	v_add_f16_e32 v7, v7, v9
	v_fma_f16 v9, v71, s13, v11
	v_add_f16_e32 v10, v10, v12
	v_fma_f16 v11, v71, s13, -v11
	v_fma_f16 v12, v70, s14, -v22
	v_mul_f16_e32 v23, 0xb5c8, v72
	v_add_f16_e32 v5, v5, v30
	v_add_f16_e32 v8, v8, v26
	;; [unrolled: 1-line block ×4, first 2 shown]
	v_fma_f16 v13, v71, s14, v23
	v_fma_f16 v22, v70, s14, v22
	v_fma_f16 v23, v71, s14, -v23
	v_mul_f16_e32 v26, 0xb836, v73
	v_mul_f16_e32 v27, 0xb836, v72
	;; [unrolled: 1-line block ×3, first 2 shown]
	v_add_f16_e32 v2, v2, v25
	v_add_f16_e32 v9, v9, v34
	;; [unrolled: 1-line block ×4, first 2 shown]
	v_fma_f16 v24, v70, s16, -v26
	v_fma_f16 v25, v71, s16, v27
	v_fma_f16 v27, v71, s16, -v27
	v_fma_f16 v28, v70, s12, -v30
	v_mul_f16_e32 v34, 0xb964, v73
	v_add_f16_e32 v24, v24, v31
	v_fma_f16 v26, v70, s16, v26
	v_add_f16_e32 v27, v27, v32
	v_add_f16_e32 v28, v28, v35
	v_mul_f16_e32 v31, 0x3bf7, v72
	v_fma_f16 v30, v70, s12, v30
	v_fma_f16 v32, v70, s3, -v34
	v_mul_f16_e32 v35, 0xb964, v72
	v_add_f16_e32 v13, v13, v38
	v_add_f16_e32 v25, v25, v60
	;; [unrolled: 1-line block ×3, first 2 shown]
	v_fma_f16 v29, v71, s12, v31
	v_add_f16_e32 v30, v30, v33
	v_fma_f16 v31, v71, s12, -v31
	v_add_f16_e32 v32, v32, v39
	v_fma_f16 v33, v71, s3, v35
	v_fma_f16 v34, v70, s3, v34
	v_fma_f16 v35, v71, s3, -v35
	v_mul_f16_e32 v38, 0xb1e1, v73
	v_mul_f16_e32 v39, 0xb1e1, v72
	;; [unrolled: 1-line block ×3, first 2 shown]
	v_add_f16_e32 v31, v31, v36
	v_add_f16_e32 v34, v34, v37
	;; [unrolled: 1-line block ×3, first 2 shown]
	v_fma_f16 v36, v70, s17, -v38
	v_fma_f16 v37, v71, s17, v39
	v_fma_f16 v39, v71, s17, -v39
	v_fma_f16 v58, v70, s2, -v60
	v_add_f16_e32 v29, v29, v64
	v_add_f16_e32 v36, v36, v61
	v_fma_f16 v38, v70, s17, v38
	v_add_f16_e32 v39, v39, v62
	v_add_f16_e32 v58, v58, v63
	v_mul_f16_e32 v61, 0x3b29, v72
	v_add_f16_e32 v63, v4, v3
	v_add_f16_sdwa v62, v4, v3 dst_sel:DWORD dst_unused:UNUSED_PAD src0_sel:WORD_1 src1_sel:WORD_1
	v_sub_f16_e32 v64, v3, v4
	v_sub_f16_sdwa v3, v3, v4 dst_sel:DWORD dst_unused:UNUSED_PAD src0_sel:WORD_1 src1_sel:WORD_1
	v_add_f16_e32 v38, v38, v59
	v_fma_f16 v59, v71, s2, v61
	v_mul_f16_e32 v4, 0xb836, v3
	v_add_f16_e32 v59, v59, v65
	v_fma_f16 v65, v63, s16, -v4
	v_add_f16_e32 v2, v65, v2
	v_mul_f16_e32 v65, 0xb836, v64
	v_fma_f16 v4, v63, s16, v4
	v_add_f16_e32 v4, v4, v6
	v_fma_f16 v6, v62, s16, -v65
	v_fma_f16 v60, v70, s2, v60
	v_add_f16_e32 v6, v6, v7
	v_mul_f16_e32 v7, 0x3b29, v3
	v_add_f16_e32 v60, v60, v66
	v_fma_f16 v66, v62, s16, v65
	v_fma_f16 v65, v63, s2, -v7
	v_add_f16_e32 v8, v65, v8
	v_mul_f16_e32 v65, 0x3b29, v64
	v_fma_f16 v7, v63, s2, v7
	v_add_f16_e32 v7, v7, v10
	v_fma_f16 v10, v62, s2, -v65
	v_add_f16_e32 v10, v10, v11
	v_mul_f16_e32 v11, 0xbbf7, v3
	v_add_f16_e32 v5, v66, v5
	v_fma_f16 v66, v62, s2, v65
	v_fma_f16 v65, v63, s12, -v11
	v_add_f16_e32 v12, v65, v12
	v_mul_f16_e32 v65, 0xbbf7, v64
	v_fma_f16 v11, v63, s12, v11
	v_add_f16_e32 v11, v11, v22
	v_fma_f16 v22, v62, s12, -v65
	;; [unrolled: 10-line block ×6, first 2 shown]
	v_mul_f16_e32 v3, 0xbbb2, v3
	v_add_f16_e32 v38, v38, v39
	v_fma_f16 v39, v63, s13, -v3
	v_fma_f16 v61, v71, s2, -v61
	v_add_f16_e32 v39, v39, v58
	v_mul_f16_e32 v58, 0xbbb2, v64
	v_add_f16_e32 v33, v33, v68
	v_add_f16_e32 v61, v61, v67
	v_fma_f16 v64, v62, s13, v58
	v_fma_f16 v3, v63, s13, v3
	v_fma_f16 v58, v62, s13, -v58
	v_add_f16_e32 v33, v66, v33
	v_fma_f16 v66, v62, s3, v65
	v_add_f16_e32 v3, v3, v60
	v_add_f16_e32 v58, v58, v61
	;; [unrolled: 1-line block ×3, first 2 shown]
	v_add_f16_sdwa v61, v1, v0 dst_sel:DWORD dst_unused:UNUSED_PAD src0_sel:WORD_1 src1_sel:WORD_1
	v_sub_f16_e32 v62, v0, v1
	v_sub_f16_sdwa v0, v0, v1 dst_sel:DWORD dst_unused:UNUSED_PAD src0_sel:WORD_1 src1_sel:WORD_1
	v_mul_f16_e32 v1, 0xb1e1, v0
	v_fma_f16 v63, v60, s17, -v1
	v_add_f16_e32 v2, v63, v2
	v_mul_f16_e32 v63, 0xb1e1, v62
	v_fma_f16 v1, v60, s17, v1
	v_add_f16_e32 v1, v1, v4
	v_fma_f16 v4, v61, s17, -v63
	v_add_f16_e32 v4, v4, v6
	v_mul_f16_e32 v6, 0x35c8, v0
	v_add_f16_e32 v59, v64, v59
	v_fma_f16 v64, v61, s17, v63
	v_fma_f16 v63, v60, s14, -v6
	v_add_f16_e32 v8, v63, v8
	v_mul_f16_e32 v63, 0x35c8, v62
	v_fma_f16 v6, v60, s14, v6
	v_add_f16_e32 v6, v6, v7
	v_fma_f16 v7, v61, s14, -v63
	v_add_f16_e32 v7, v7, v10
	v_mul_f16_e32 v10, 0xb836, v0
	v_add_f16_e32 v5, v64, v5
	v_fma_f16 v64, v61, s14, v63
	;; [unrolled: 10-line block ×6, first 2 shown]
	v_fma_f16 v63, v60, s13, -v34
	v_add_f16_e32 v36, v63, v36
	v_mul_f16_e32 v63, 0xbbb2, v62
	v_fma_f16 v34, v60, s13, v34
	v_add_f16_e32 v34, v34, v35
	v_fma_f16 v35, v61, s13, -v63
	v_mul_f16_e32 v0, 0x3bf7, v0
	v_add_f16_e32 v35, v35, v38
	v_fma_f16 v38, v60, s12, -v0
	v_add_f16_e32 v38, v38, v39
	v_mul_f16_e32 v39, 0x3bf7, v62
	v_fma_f16 v0, v60, s12, v0
	v_fma_f16 v62, v61, s12, v39
	v_add_f16_e32 v0, v0, v3
	v_fma_f16 v3, v61, s12, -v39
	v_mul_lo_u16_e32 v39, 17, v16
	v_add_f16_e32 v37, v37, v69
	v_add_f16_e32 v3, v3, v58
	v_lshl_add_u32 v58, v39, 2, v57
	v_pack_b32_f16 v2, v2, v5
	v_pack_b32_f16 v5, v14, v15
	v_add_f16_e32 v37, v66, v37
	v_add_f16_e32 v33, v64, v33
	v_fma_f16 v64, v61, s13, v63
	s_barrier
	ds_write2_b32 v58, v5, v2 offset1:1
	v_pack_b32_f16 v2, v12, v13
	v_pack_b32_f16 v5, v8, v9
	v_add_f16_e32 v37, v64, v37
	ds_write2_b32 v58, v5, v2 offset0:2 offset1:3
	v_pack_b32_f16 v2, v28, v29
	v_pack_b32_f16 v5, v24, v25
	v_add_f16_e32 v59, v62, v59
	ds_write2_b32 v58, v5, v2 offset0:4 offset1:5
	v_pack_b32_f16 v2, v36, v37
	v_pack_b32_f16 v5, v32, v33
	ds_write2_b32 v58, v5, v2 offset0:6 offset1:7
	v_pack_b32_f16 v0, v0, v3
	v_pack_b32_f16 v2, v38, v59
	;; [unrolled: 3-line block ×5, first 2 shown]
	v_lshl_add_u64 v[22:23], v[16:17], 0, s[18:19]
	ds_write2_b32 v58, v2, v0 offset0:14 offset1:15
	v_pack_b32_f16 v0, v1, v4
	v_cndmask_b32_e64 v25, v23, 0, vcc
	v_cndmask_b32_e32 v24, v22, v16, vcc
	ds_write_b32 v58, v0 offset:64
	v_lshlrev_b64 v[0:1], 6, v[24:25]
	v_lshl_add_u64 v[12:13], s[10:11], 0, v[0:1]
	s_waitcnt lgkmcnt(0)
	s_barrier
	global_load_dwordx4 v[0:3], v[12:13], off
	global_load_dwordx4 v[4:7], v[12:13], off offset:48
	ds_read2_b32 v[28:29], v19 offset1:34
	ds_read2_b32 v[26:27], v19 offset0:68 offset1:102
	ds_read_b32 v25, v19 offset:2176
	global_load_dwordx4 v[8:11], v[12:13], off offset:16
	s_waitcnt lgkmcnt(2)
	v_lshrrev_b32_e32 v14, 16, v29
	s_waitcnt lgkmcnt(1)
	v_lshrrev_b32_e32 v32, 16, v26
	;; [unrolled: 2-line block ×3, first 2 shown]
	v_lshrrev_b32_e32 v33, 16, v27
	s_waitcnt vmcnt(2)
	v_mul_f16_sdwa v15, v14, v0 dst_sel:DWORD dst_unused:UNUSED_PAD src0_sel:DWORD src1_sel:WORD_1
	v_fma_f16 v34, v29, v0, -v15
	v_mul_f16_sdwa v15, v29, v0 dst_sel:DWORD dst_unused:UNUSED_PAD src0_sel:DWORD src1_sel:WORD_1
	v_fma_f16 v29, v14, v0, v15
	global_load_dwordx4 v[12:15], v[12:13], off offset:32
	s_waitcnt vmcnt(2)
	v_mul_f16_sdwa v31, v30, v7 dst_sel:DWORD dst_unused:UNUSED_PAD src0_sel:DWORD src1_sel:WORD_1
	v_fma_f16 v38, v25, v7, -v31
	v_mul_f16_sdwa v25, v25, v7 dst_sel:DWORD dst_unused:UNUSED_PAD src0_sel:DWORD src1_sel:WORD_1
	v_fma_f16 v39, v30, v7, v25
	v_sub_f16_e32 v31, v34, v38
	v_sub_f16_e32 v35, v29, v39
	v_add_f16_e32 v25, v34, v38
	v_add_f16_e32 v30, v29, v39
	v_mul_f16_e32 v36, 0xb5c8, v35
	v_mul_f16_e32 v59, 0xb5c8, v31
	;; [unrolled: 1-line block ×16, first 2 shown]
	v_fma_f16 v37, v25, s14, -v36
	v_fma_f16 v60, v30, s14, v59
	v_fma_f16 v36, v25, s14, v36
	v_fma_f16 v59, v30, s14, -v59
	v_fma_f16 v62, v25, s3, -v61
	v_fma_f16 v64, v30, s3, v63
	v_fma_f16 v61, v25, s3, v61
	v_fma_f16 v63, v30, s3, -v63
	;; [unrolled: 4-line block ×8, first 2 shown]
	ds_read2_b32 v[30:31], v19 offset0:136 offset1:170
	v_add_f16_e32 v91, v28, v25
	v_mul_f16_sdwa v25, v32, v1 dst_sel:DWORD dst_unused:UNUSED_PAD src0_sel:DWORD src1_sel:WORD_1
	v_fma_f16 v93, v26, v1, -v25
	v_mul_f16_sdwa v25, v26, v1 dst_sel:DWORD dst_unused:UNUSED_PAD src0_sel:DWORD src1_sel:WORD_1
	v_fma_f16 v94, v32, v1, v25
	v_mul_f16_sdwa v25, v33, v2 dst_sel:DWORD dst_unused:UNUSED_PAD src0_sel:DWORD src1_sel:WORD_1
	v_fma_f16 v95, v27, v2, -v25
	v_mul_f16_sdwa v25, v27, v2 dst_sel:DWORD dst_unused:UNUSED_PAD src0_sel:DWORD src1_sel:WORD_1
	s_waitcnt lgkmcnt(0)
	v_lshrrev_b32_e32 v26, 16, v30
	v_fma_f16 v33, v33, v2, v25
	v_mul_f16_sdwa v25, v30, v3 dst_sel:DWORD dst_unused:UNUSED_PAD src0_sel:DWORD src1_sel:WORD_1
	v_fma_f16 v96, v26, v3, v25
	v_mul_f16_sdwa v25, v26, v3 dst_sel:DWORD dst_unused:UNUSED_PAD src0_sel:DWORD src1_sel:WORD_1
	ds_read2_b32 v[26:27], v19 offset0:204 offset1:238
	v_fma_f16 v97, v30, v3, -v25
	v_lshrrev_b32_e32 v25, 16, v31
	v_add_f16_e32 v87, v28, v34
	v_add_f16_sdwa v88, v28, v29 dst_sel:DWORD dst_unused:UNUSED_PAD src0_sel:WORD_1 src1_sel:DWORD
	v_add_f16_e32 v89, v28, v37
	v_add_f16_sdwa v60, v28, v60 dst_sel:DWORD dst_unused:UNUSED_PAD src0_sel:WORD_1 src1_sel:DWORD
	;; [unrolled: 2-line block ×16, first 2 shown]
	v_add_f16_sdwa v92, v28, v35 dst_sel:DWORD dst_unused:UNUSED_PAD src0_sel:WORD_1 src1_sel:DWORD
	s_waitcnt vmcnt(1)
	v_mul_f16_sdwa v28, v25, v8 dst_sel:DWORD dst_unused:UNUSED_PAD src0_sel:DWORD src1_sel:WORD_1
	v_fma_f16 v98, v31, v8, -v28
	v_mul_f16_sdwa v28, v31, v8 dst_sel:DWORD dst_unused:UNUSED_PAD src0_sel:DWORD src1_sel:WORD_1
	v_fma_f16 v99, v25, v8, v28
	s_waitcnt lgkmcnt(0)
	v_lshrrev_b32_e32 v25, 16, v26
	v_mul_f16_sdwa v28, v26, v9 dst_sel:DWORD dst_unused:UNUSED_PAD src0_sel:DWORD src1_sel:WORD_1
	v_fma_f16 v100, v25, v9, v28
	ds_read2_b32 v[28:29], v21 offset0:16 offset1:50
	v_mul_f16_sdwa v25, v25, v9 dst_sel:DWORD dst_unused:UNUSED_PAD src0_sel:DWORD src1_sel:WORD_1
	v_fma_f16 v101, v26, v9, -v25
	v_lshrrev_b32_e32 v25, 16, v27
	v_mul_f16_sdwa v26, v25, v10 dst_sel:DWORD dst_unused:UNUSED_PAD src0_sel:DWORD src1_sel:WORD_1
	v_fma_f16 v31, v27, v10, -v26
	v_mul_f16_sdwa v26, v27, v10 dst_sel:DWORD dst_unused:UNUSED_PAD src0_sel:DWORD src1_sel:WORD_1
	v_fma_f16 v32, v25, v10, v26
	s_waitcnt lgkmcnt(0)
	v_lshrrev_b32_e32 v25, 16, v28
	v_mul_f16_sdwa v26, v28, v11 dst_sel:DWORD dst_unused:UNUSED_PAD src0_sel:DWORD src1_sel:WORD_1
	ds_read2_b32 v[34:35], v21 offset0:84 offset1:118
	v_fma_f16 v26, v25, v11, v26
	v_mul_f16_sdwa v25, v25, v11 dst_sel:DWORD dst_unused:UNUSED_PAD src0_sel:DWORD src1_sel:WORD_1
	v_fma_f16 v27, v28, v11, -v25
	v_lshrrev_b32_e32 v25, 16, v29
	s_waitcnt vmcnt(0)
	v_mul_f16_sdwa v28, v25, v12 dst_sel:DWORD dst_unused:UNUSED_PAD src0_sel:DWORD src1_sel:WORD_1
	v_fma_f16 v28, v29, v12, -v28
	v_mul_f16_sdwa v29, v29, v12 dst_sel:DWORD dst_unused:UNUSED_PAD src0_sel:DWORD src1_sel:WORD_1
	v_fma_f16 v30, v25, v12, v29
	s_waitcnt lgkmcnt(0)
	v_lshrrev_b32_e32 v25, 16, v34
	v_mul_f16_sdwa v29, v34, v13 dst_sel:DWORD dst_unused:UNUSED_PAD src0_sel:DWORD src1_sel:WORD_1
	ds_read2_b32 v[36:37], v21 offset0:152 offset1:186
	v_fma_f16 v102, v25, v13, v29
	v_mul_f16_sdwa v25, v25, v13 dst_sel:DWORD dst_unused:UNUSED_PAD src0_sel:DWORD src1_sel:WORD_1
	v_fma_f16 v103, v34, v13, -v25
	v_lshrrev_b32_e32 v25, 16, v35
	v_mul_f16_sdwa v29, v25, v14 dst_sel:DWORD dst_unused:UNUSED_PAD src0_sel:DWORD src1_sel:WORD_1
	v_fma_f16 v104, v35, v14, -v29
	v_mul_f16_sdwa v29, v35, v14 dst_sel:DWORD dst_unused:UNUSED_PAD src0_sel:DWORD src1_sel:WORD_1
	v_fma_f16 v105, v25, v14, v29
	s_waitcnt lgkmcnt(0)
	v_lshrrev_b32_e32 v25, 16, v36
	v_mul_f16_sdwa v29, v36, v15 dst_sel:DWORD dst_unused:UNUSED_PAD src0_sel:DWORD src1_sel:WORD_1
	ds_read2_b32 v[34:35], v21 offset0:220 offset1:254
	v_fma_f16 v106, v25, v15, v29
	v_mul_f16_sdwa v25, v25, v15 dst_sel:DWORD dst_unused:UNUSED_PAD src0_sel:DWORD src1_sel:WORD_1
	v_fma_f16 v36, v36, v15, -v25
	v_lshrrev_b32_e32 v25, 16, v37
	v_mul_f16_sdwa v29, v25, v4 dst_sel:DWORD dst_unused:UNUSED_PAD src0_sel:DWORD src1_sel:WORD_1
	v_fma_f16 v107, v37, v4, -v29
	v_mul_f16_sdwa v29, v37, v4 dst_sel:DWORD dst_unused:UNUSED_PAD src0_sel:DWORD src1_sel:WORD_1
	v_fma_f16 v37, v25, v4, v29
	s_waitcnt lgkmcnt(0)
	v_lshrrev_b32_e32 v25, 16, v34
	v_mul_f16_sdwa v29, v34, v5 dst_sel:DWORD dst_unused:UNUSED_PAD src0_sel:DWORD src1_sel:WORD_1
	v_fma_f16 v108, v25, v5, v29
	v_mul_f16_sdwa v25, v25, v5 dst_sel:DWORD dst_unused:UNUSED_PAD src0_sel:DWORD src1_sel:WORD_1
	v_fma_f16 v34, v34, v5, -v25
	v_lshrrev_b32_e32 v25, 16, v35
	v_mul_f16_sdwa v29, v25, v6 dst_sel:DWORD dst_unused:UNUSED_PAD src0_sel:DWORD src1_sel:WORD_1
	v_fma_f16 v109, v35, v6, -v29
	v_mul_f16_sdwa v29, v35, v6 dst_sel:DWORD dst_unused:UNUSED_PAD src0_sel:DWORD src1_sel:WORD_1
	v_fma_f16 v35, v25, v6, v29
	v_add_f16_e32 v25, v87, v93
	v_add_f16_e32 v29, v88, v94
	;; [unrolled: 1-line block ×29, first 2 shown]
	v_sub_f16_e32 v35, v94, v35
	v_add_f16_e32 v25, v25, v38
	v_add_f16_e32 v38, v93, v109
	v_mul_f16_e32 v88, 0xb964, v35
	v_add_f16_e32 v29, v29, v39
	v_sub_f16_e32 v39, v93, v109
	v_fma_f16 v93, v38, s3, -v88
	v_add_f16_e32 v89, v93, v89
	v_mul_f16_e32 v93, 0xb964, v39
	v_fma_f16 v88, v38, s3, v88
	v_add_f16_e32 v88, v88, v90
	v_fma_f16 v90, v87, s3, -v93
	v_add_f16_e32 v59, v90, v59
	v_mul_f16_e32 v90, 0xbbf7, v35
	v_fma_f16 v94, v87, s3, v93
	v_fma_f16 v93, v38, s12, -v90
	v_add_f16_e32 v62, v93, v62
	v_mul_f16_e32 v93, 0xbbf7, v39
	v_fma_f16 v90, v38, s12, v90
	v_add_f16_e32 v61, v90, v61
	v_fma_f16 v90, v87, s12, -v93
	v_add_f16_e32 v63, v90, v63
	v_mul_f16_e32 v90, 0xba62, v35
	v_add_f16_e32 v60, v94, v60
	v_fma_f16 v94, v87, s12, v93
	v_fma_f16 v93, v38, s15, -v90
	v_add_f16_e32 v66, v93, v66
	v_mul_f16_e32 v93, 0xba62, v39
	v_fma_f16 v90, v38, s15, v90
	v_add_f16_e32 v65, v90, v65
	v_fma_f16 v90, v87, s15, -v93
	v_add_f16_e32 v67, v90, v67
	v_mul_f16_e32 v90, 0xb1e1, v35
	v_add_f16_e32 v64, v94, v64
	;; [unrolled: 10-line block ×5, first 2 shown]
	v_fma_f16 v94, v87, s13, v93
	v_fma_f16 v93, v38, s2, -v90
	v_add_f16_e32 v82, v93, v82
	v_mul_f16_e32 v93, 0x3b29, v39
	v_fma_f16 v90, v38, s2, v90
	v_add_f16_e32 v81, v90, v81
	v_fma_f16 v90, v87, s2, -v93
	v_mul_f16_e32 v35, 0x35c8, v35
	v_add_f16_e32 v83, v90, v83
	v_fma_f16 v90, v38, s14, -v35
	v_mul_f16_e32 v39, 0x35c8, v39
	v_add_f16_e32 v80, v94, v80
	v_fma_f16 v94, v87, s2, v93
	v_add_f16_e32 v85, v90, v85
	v_fma_f16 v90, v87, s14, v39
	v_fma_f16 v35, v38, s14, v35
	v_fma_f16 v38, v87, s14, -v39
	v_add_f16_e32 v87, v33, v108
	v_sub_f16_e32 v33, v33, v108
	v_add_f16_e32 v86, v90, v86
	v_add_f16_e32 v39, v95, v34
	v_mul_f16_e32 v90, 0xbb29, v33
	v_add_f16_e32 v35, v35, v91
	v_sub_f16_e32 v34, v95, v34
	v_fma_f16 v91, v39, s2, -v90
	v_add_f16_e32 v89, v91, v89
	v_mul_f16_e32 v91, 0xbb29, v34
	v_fma_f16 v90, v39, s2, v90
	v_add_f16_e32 v88, v90, v88
	v_fma_f16 v90, v87, s2, -v91
	v_add_f16_e32 v59, v90, v59
	v_mul_f16_e32 v90, 0xba62, v33
	v_add_f16_e32 v38, v38, v92
	v_fma_f16 v92, v87, s2, v91
	v_fma_f16 v91, v39, s15, -v90
	v_add_f16_e32 v62, v91, v62
	v_mul_f16_e32 v91, 0xba62, v34
	v_fma_f16 v90, v39, s15, v90
	v_add_f16_e32 v61, v90, v61
	v_fma_f16 v90, v87, s15, -v91
	v_add_f16_e32 v63, v90, v63
	v_mul_f16_e32 v90, 0x31e1, v33
	v_add_f16_e32 v60, v92, v60
	v_fma_f16 v92, v87, s15, v91
	;; [unrolled: 10-line block ×6, first 2 shown]
	v_fma_f16 v91, v39, s12, -v90
	v_add_f16_e32 v82, v91, v82
	v_mul_f16_e32 v91, 0xbbf7, v34
	v_fma_f16 v90, v39, s12, v90
	v_add_f16_e32 v81, v90, v81
	v_fma_f16 v90, v87, s12, -v91
	v_mul_f16_e32 v33, 0xb836, v33
	v_add_f16_e32 v83, v90, v83
	v_fma_f16 v90, v39, s16, -v33
	v_mul_f16_e32 v34, 0xb836, v34
	v_fma_f16 v33, v39, s16, v33
	v_add_f16_e32 v39, v96, v37
	v_sub_f16_e32 v37, v96, v37
	v_add_f16_e32 v80, v92, v80
	v_fma_f16 v92, v87, s12, v91
	v_add_f16_e32 v85, v90, v85
	v_fma_f16 v90, v87, s16, v34
	v_add_f16_e32 v33, v33, v35
	v_fma_f16 v34, v87, s16, -v34
	v_add_f16_e32 v35, v97, v107
	v_mul_f16_e32 v87, 0xbbf7, v37
	v_add_f16_e32 v86, v90, v86
	v_add_f16_e32 v34, v34, v38
	v_sub_f16_e32 v38, v97, v107
	v_fma_f16 v90, v35, s12, -v87
	v_add_f16_e32 v89, v90, v89
	v_mul_f16_e32 v90, 0xbbf7, v38
	v_fma_f16 v87, v35, s12, v87
	v_add_f16_e32 v87, v87, v88
	v_fma_f16 v88, v39, s12, -v90
	v_add_f16_e32 v59, v88, v59
	v_mul_f16_e32 v88, 0xb1e1, v37
	v_fma_f16 v91, v39, s12, v90
	v_fma_f16 v90, v35, s17, -v88
	v_add_f16_e32 v62, v90, v62
	v_mul_f16_e32 v90, 0xb1e1, v38
	v_fma_f16 v88, v35, s17, v88
	v_add_f16_e32 v61, v88, v61
	v_fma_f16 v88, v39, s17, -v90
	v_add_f16_e32 v63, v88, v63
	v_mul_f16_e32 v88, 0x3bb2, v37
	v_add_f16_e32 v60, v91, v60
	v_fma_f16 v91, v39, s17, v90
	v_fma_f16 v90, v35, s13, -v88
	v_add_f16_e32 v66, v90, v66
	v_mul_f16_e32 v90, 0x3bb2, v38
	v_fma_f16 v88, v35, s13, v88
	v_add_f16_e32 v65, v88, v65
	v_fma_f16 v88, v39, s13, -v90
	v_add_f16_e32 v67, v88, v67
	v_mul_f16_e32 v88, 0x35c8, v37
	v_add_f16_e32 v64, v91, v64
	;; [unrolled: 10-line block ×5, first 2 shown]
	v_fma_f16 v91, v39, s16, v90
	v_fma_f16 v90, v35, s15, -v88
	v_add_f16_e32 v82, v90, v82
	v_mul_f16_e32 v90, 0x3a62, v38
	v_fma_f16 v88, v35, s15, v88
	v_add_f16_e32 v81, v88, v81
	v_fma_f16 v88, v39, s15, -v90
	v_mul_f16_e32 v37, 0x3964, v37
	v_add_f16_e32 v83, v88, v83
	v_fma_f16 v88, v35, s3, -v37
	v_mul_f16_e32 v38, 0x3964, v38
	v_fma_f16 v35, v35, s3, v37
	v_add_f16_e32 v85, v88, v85
	v_fma_f16 v88, v39, s3, v38
	v_add_f16_e32 v33, v35, v33
	v_fma_f16 v35, v39, s3, -v38
	v_sub_f16_e32 v38, v99, v106
	v_add_f16_e32 v80, v91, v80
	v_fma_f16 v91, v39, s15, v90
	v_add_f16_e32 v34, v35, v34
	v_add_f16_e32 v35, v98, v36
	v_mul_f16_e32 v39, 0xbbb2, v38
	v_add_f16_e32 v86, v88, v86
	v_sub_f16_e32 v36, v98, v36
	v_fma_f16 v88, v35, s13, -v39
	v_add_f16_e32 v37, v99, v106
	v_add_f16_e32 v88, v88, v89
	v_mul_f16_e32 v89, 0xbbb2, v36
	v_fma_f16 v39, v35, s13, v39
	v_add_f16_e32 v39, v39, v87
	v_fma_f16 v87, v37, s13, -v89
	v_add_f16_e32 v59, v87, v59
	v_mul_f16_e32 v87, 0x3836, v38
	v_fma_f16 v90, v37, s13, v89
	v_fma_f16 v89, v35, s16, -v87
	v_add_f16_e32 v62, v89, v62
	v_mul_f16_e32 v89, 0x3836, v36
	v_fma_f16 v87, v35, s16, v87
	v_add_f16_e32 v61, v87, v61
	v_fma_f16 v87, v37, s16, -v89
	v_add_f16_e32 v63, v87, v63
	v_mul_f16_e32 v87, 0x3964, v38
	v_add_f16_e32 v60, v90, v60
	v_fma_f16 v90, v37, s16, v89
	v_fma_f16 v89, v35, s3, -v87
	v_add_f16_e32 v66, v89, v66
	v_mul_f16_e32 v89, 0x3964, v36
	v_fma_f16 v87, v35, s3, v87
	v_add_f16_e32 v65, v87, v65
	v_fma_f16 v87, v37, s3, -v89
	v_add_f16_e32 v67, v87, v67
	v_mul_f16_e32 v87, 0xbb29, v38
	v_add_f16_e32 v64, v90, v64
	;; [unrolled: 10-line block ×5, first 2 shown]
	v_fma_f16 v90, v37, s12, v89
	v_fma_f16 v89, v35, s14, -v87
	v_add_f16_e32 v82, v89, v82
	v_mul_f16_e32 v89, 0xb5c8, v36
	v_fma_f16 v87, v35, s14, v87
	v_add_f16_e32 v81, v87, v81
	v_fma_f16 v87, v37, s14, -v89
	v_mul_f16_e32 v38, 0xba62, v38
	v_add_f16_e32 v83, v87, v83
	v_fma_f16 v87, v35, s15, -v38
	v_mul_f16_e32 v36, 0xba62, v36
	v_fma_f16 v35, v35, s15, v38
	v_add_f16_e32 v85, v87, v85
	v_fma_f16 v87, v37, s15, v36
	v_add_f16_e32 v33, v35, v33
	v_fma_f16 v35, v37, s15, -v36
	v_sub_f16_e32 v38, v100, v105
	v_add_f16_e32 v86, v87, v86
	v_add_f16_e32 v34, v35, v34
	;; [unrolled: 1-line block ×3, first 2 shown]
	v_mul_f16_e32 v87, 0xba62, v38
	v_add_f16_e32 v80, v90, v80
	v_fma_f16 v90, v37, s14, v89
	v_sub_f16_e32 v36, v101, v104
	v_fma_f16 v89, v35, s15, -v87
	v_add_f16_e32 v84, v94, v84
	v_add_f16_e32 v37, v100, v105
	;; [unrolled: 1-line block ×3, first 2 shown]
	v_mul_f16_e32 v89, 0xba62, v36
	v_fma_f16 v87, v35, s15, v87
	v_add_f16_e32 v84, v92, v84
	v_add_f16_e32 v39, v87, v39
	v_fma_f16 v87, v37, s15, -v89
	v_add_f16_e32 v84, v91, v84
	v_add_f16_e32 v59, v87, v59
	v_mul_f16_e32 v87, 0x3bb2, v38
	v_add_f16_e32 v84, v90, v84
	v_fma_f16 v90, v37, s15, v89
	v_fma_f16 v89, v35, s13, -v87
	v_add_f16_e32 v62, v89, v62
	v_mul_f16_e32 v89, 0x3bb2, v36
	v_fma_f16 v87, v35, s13, v87
	v_add_f16_e32 v61, v87, v61
	v_fma_f16 v87, v37, s13, -v89
	v_add_f16_e32 v63, v87, v63
	v_mul_f16_e32 v87, 0xb5c8, v38
	v_add_f16_e32 v60, v90, v60
	v_fma_f16 v90, v37, s13, v89
	v_fma_f16 v89, v35, s14, -v87
	v_add_f16_e32 v66, v89, v66
	v_mul_f16_e32 v89, 0xb5c8, v36
	v_fma_f16 v87, v35, s14, v87
	v_add_f16_e32 v65, v87, v65
	v_fma_f16 v87, v37, s14, -v89
	v_add_f16_e32 v67, v87, v67
	v_mul_f16_e32 v87, 0xb836, v38
	v_add_f16_e32 v64, v90, v64
	v_fma_f16 v90, v37, s14, v89
	v_fma_f16 v89, v35, s16, -v87
	v_add_f16_e32 v70, v89, v70
	v_mul_f16_e32 v89, 0xb836, v36
	v_fma_f16 v87, v35, s16, v87
	v_add_f16_e32 v69, v87, v69
	v_fma_f16 v87, v37, s16, -v89
	v_add_f16_e32 v71, v87, v71
	v_mul_f16_e32 v87, 0x3bf7, v38
	v_add_f16_e32 v68, v90, v68
	v_fma_f16 v90, v37, s16, v89
	v_fma_f16 v89, v35, s12, -v87
	v_add_f16_e32 v74, v89, v74
	v_mul_f16_e32 v89, 0x3bf7, v36
	v_fma_f16 v87, v35, s12, v87
	v_add_f16_e32 v73, v87, v73
	v_fma_f16 v87, v37, s12, -v89
	v_add_f16_e32 v75, v87, v75
	v_mul_f16_e32 v87, 0xb964, v38
	v_add_f16_e32 v72, v90, v72
	v_fma_f16 v90, v37, s12, v89
	v_fma_f16 v89, v35, s3, -v87
	v_add_f16_e32 v78, v89, v78
	v_mul_f16_e32 v89, 0xb964, v36
	v_fma_f16 v87, v35, s3, v87
	v_add_f16_e32 v77, v87, v77
	v_fma_f16 v87, v37, s3, -v89
	v_add_f16_e32 v79, v87, v79
	v_mul_f16_e32 v87, 0xb1e1, v38
	v_add_f16_e32 v76, v90, v76
	v_fma_f16 v90, v37, s3, v89
	v_fma_f16 v89, v35, s17, -v87
	v_add_f16_e32 v82, v89, v82
	v_mul_f16_e32 v89, 0xb1e1, v36
	v_fma_f16 v87, v35, s17, v87
	v_add_f16_e32 v81, v87, v81
	v_fma_f16 v87, v37, s17, -v89
	v_mul_f16_e32 v38, 0x3b29, v38
	v_add_f16_e32 v83, v87, v83
	v_fma_f16 v87, v35, s2, -v38
	v_mul_f16_e32 v36, 0x3b29, v36
	v_fma_f16 v35, v35, s2, v38
	v_add_f16_e32 v85, v87, v85
	v_fma_f16 v87, v37, s2, v36
	v_add_f16_e32 v33, v35, v33
	v_fma_f16 v35, v37, s2, -v36
	v_add_f16_e32 v36, v32, v102
	v_sub_f16_e32 v32, v32, v102
	v_add_f16_e32 v80, v90, v80
	v_fma_f16 v90, v37, s17, v89
	v_add_f16_e32 v34, v35, v34
	v_add_f16_e32 v35, v31, v103
	v_sub_f16_e32 v31, v31, v103
	v_mul_f16_e32 v37, 0xb836, v32
	v_add_f16_e32 v86, v87, v86
	v_fma_f16 v38, v35, s16, -v37
	v_mul_f16_e32 v87, 0xb836, v31
	v_fma_f16 v37, v35, s16, v37
	v_add_f16_e32 v37, v37, v39
	v_fma_f16 v39, v36, s16, -v87
	v_add_f16_e32 v39, v39, v59
	v_mul_f16_e32 v59, 0x3b29, v32
	v_add_f16_e32 v38, v38, v88
	v_fma_f16 v88, v36, s16, v87
	v_fma_f16 v87, v35, s2, -v59
	v_add_f16_e32 v62, v87, v62
	v_mul_f16_e32 v87, 0x3b29, v31
	v_fma_f16 v59, v35, s2, v59
	v_add_f16_e32 v59, v59, v61
	v_fma_f16 v61, v36, s2, -v87
	v_add_f16_e32 v61, v61, v63
	v_mul_f16_e32 v63, 0xbbf7, v32
	v_add_f16_e32 v60, v88, v60
	v_fma_f16 v88, v36, s2, v87
	v_fma_f16 v87, v35, s12, -v63
	v_add_f16_e32 v66, v87, v66
	v_mul_f16_e32 v87, 0xbbf7, v31
	v_fma_f16 v63, v35, s12, v63
	v_add_f16_e32 v63, v63, v65
	v_fma_f16 v65, v36, s12, -v87
	v_add_f16_e32 v64, v88, v64
	v_fma_f16 v88, v36, s12, v87
	v_add_f16_e32 v65, v65, v67
	v_mul_f16_e32 v67, 0x3a62, v32
	v_add_f16_e32 v88, v88, v68
	v_fma_f16 v68, v35, s15, -v67
	v_add_f16_e32 v70, v68, v70
	v_mul_f16_e32 v68, 0x3a62, v31
	v_fma_f16 v87, v36, s15, v68
	v_fma_f16 v67, v35, s15, v67
	v_add_f16_e32 v72, v87, v72
	v_add_f16_e32 v87, v67, v69
	v_fma_f16 v67, v36, s15, -v68
	v_add_f16_e32 v71, v67, v71
	v_mul_f16_e32 v67, 0xb5c8, v32
	v_fma_f16 v68, v35, s14, -v67
	v_add_f16_e32 v89, v68, v74
	v_mul_f16_e32 v68, 0xb5c8, v31
	v_fma_f16 v67, v35, s14, v67
	v_add_f16_e32 v91, v67, v73
	v_fma_f16 v67, v36, s14, -v68
	v_add_f16_e32 v92, v67, v75
	v_mul_f16_e32 v67, 0xb1e1, v32
	v_fma_f16 v69, v36, s14, v68
	v_fma_f16 v68, v35, s17, -v67
	v_add_f16_e32 v93, v68, v78
	v_mul_f16_e32 v68, 0xb1e1, v31
	v_fma_f16 v67, v35, s17, v67
	v_add_f16_e32 v94, v67, v77
	v_fma_f16 v67, v36, s17, -v68
	v_sub_f16_e32 v100, v26, v30
	v_add_f16_e32 v79, v67, v79
	v_mul_f16_e32 v67, 0x3964, v32
	v_add_f16_e32 v97, v27, v28
	v_add_f16_e32 v99, v26, v30
	v_mul_f16_e32 v26, 0xb1e1, v100
	v_add_f16_e32 v84, v90, v84
	v_add_f16_e32 v90, v69, v76
	v_fma_f16 v69, v36, s17, v68
	v_fma_f16 v68, v35, s3, -v67
	v_sub_f16_e32 v98, v27, v28
	v_fma_f16 v27, v97, s17, -v26
	v_add_f16_e32 v82, v68, v82
	v_mul_f16_e32 v68, 0x3964, v31
	v_fma_f16 v67, v35, s3, v67
	v_add_f16_e32 v77, v27, v38
	v_mul_f16_e32 v27, 0xb1e1, v98
	v_fma_f16 v26, v97, s17, v26
	v_add_f16_e32 v80, v69, v80
	v_fma_f16 v69, v36, s3, v68
	v_add_f16_e32 v81, v67, v81
	v_fma_f16 v67, v36, s3, -v68
	v_add_f16_e32 v68, v26, v37
	v_fma_f16 v26, v99, s17, -v27
	v_add_f16_e32 v84, v69, v84
	v_add_f16_e32 v69, v26, v39
	v_mul_f16_e32 v26, 0x35c8, v100
	v_fma_f16 v28, v99, s17, v27
	v_fma_f16 v27, v97, s14, -v26
	v_add_f16_e32 v73, v27, v62
	v_mul_f16_e32 v27, 0x35c8, v98
	v_add_f16_e32 v78, v28, v60
	v_fma_f16 v28, v99, s14, v27
	v_mul_f16_e32 v32, 0xbbb2, v32
	v_add_f16_e32 v74, v28, v64
	v_mul_f16_e32 v28, 0xb836, v100
	v_add_f16_e32 v83, v67, v83
	v_fma_f16 v67, v35, s13, -v32
	v_mul_f16_e32 v31, 0xbbb2, v31
	v_fma_f16 v30, v97, s16, -v28
	v_add_f16_e32 v85, v67, v85
	v_fma_f16 v67, v36, s13, v31
	v_fma_f16 v31, v36, s13, -v31
	v_add_f16_e32 v75, v30, v66
	v_mul_f16_e32 v30, 0xb836, v98
	v_add_f16_e32 v96, v31, v34
	v_fma_f16 v31, v99, s16, v30
	v_fma_f16 v32, v35, s13, v32
	v_add_f16_e32 v76, v31, v88
	v_mul_f16_e32 v31, 0x3964, v100
	v_add_f16_e32 v95, v32, v33
	v_fma_f16 v32, v97, s3, -v31
	v_add_f16_e32 v86, v67, v86
	v_add_f16_e32 v67, v32, v70
	v_mul_f16_e32 v32, 0x3964, v98
	v_fma_f16 v33, v99, s3, v32
	v_add_f16_e32 v70, v33, v72
	v_mul_f16_e32 v33, 0xba62, v100
	v_fma_f16 v32, v99, s3, -v32
	v_fma_f16 v34, v97, s15, -v33
	v_add_f16_e32 v32, v32, v71
	v_add_f16_e32 v71, v34, v89
	v_mul_f16_e32 v34, 0xba62, v98
	v_fma_f16 v35, v99, s15, v34
	v_add_f16_e32 v72, v35, v90
	v_mul_f16_e32 v35, 0x3b29, v100
	v_fma_f16 v28, v97, s16, v28
	v_fma_f16 v36, v97, s2, -v35
	v_add_f16_e32 v28, v28, v63
	v_add_f16_e32 v63, v36, v93
	v_mul_f16_e32 v36, 0x3b29, v98
	v_fma_f16 v37, v99, s2, v36
	v_add_f16_e32 v64, v37, v80
	v_mul_f16_e32 v37, 0xbbb2, v100
	v_fma_f16 v30, v99, s16, -v30
	v_fma_f16 v38, v97, s13, -v37
	v_fma_f16 v26, v97, s14, v26
	v_add_f16_e32 v30, v30, v65
	v_add_f16_e32 v65, v38, v82
	v_mul_f16_e32 v38, 0xbbb2, v98
	v_add_f16_e32 v26, v26, v59
	v_fma_f16 v39, v99, s13, v38
	v_mul_f16_e32 v59, 0x3bf7, v100
	v_fma_f16 v27, v99, s14, -v27
	v_add_f16_e32 v66, v39, v84
	v_fma_f16 v39, v97, s12, -v59
	v_mul_f16_e32 v62, 0x3bf7, v98
	v_fma_f16 v59, v97, s12, v59
	v_add_f16_e32 v27, v27, v61
	v_add_f16_e32 v61, v59, v95
	v_fma_f16 v59, v99, s12, -v62
	v_fma_f16 v31, v97, s3, v31
	v_fma_f16 v35, v97, s2, v35
	v_fma_f16 v36, v99, s2, -v36
	v_fma_f16 v60, v99, s12, v62
	s_load_dwordx2 s[2:3], s[0:1], 0x38
	v_add_f16_e32 v62, v59, v96
	v_mov_b32_e32 v59, 0x121
	v_cmp_lt_u16_e64 s[0:1], 16, v16
	s_waitcnt lgkmcnt(0)
	s_barrier
	v_cndmask_b32_e64 v59, 0, v59, s[0:1]
	v_add_u32_e32 v24, v24, v59
	v_lshl_add_u32 v59, v24, 2, v57
	v_pack_b32_f16 v24, v25, v29
	v_pack_b32_f16 v25, v77, v78
	ds_write2_b32 v59, v24, v25 offset1:17
	v_pack_b32_f16 v24, v73, v74
	v_pack_b32_f16 v25, v75, v76
	ds_write2_b32 v59, v24, v25 offset0:34 offset1:51
	v_pack_b32_f16 v24, v67, v70
	v_pack_b32_f16 v25, v71, v72
	v_fma_f16 v37, v97, s13, v37
	v_fma_f16 v38, v99, s13, -v38
	v_add_f16_e32 v39, v39, v85
	v_add_f16_e32 v60, v60, v86
	ds_write2_b32 v59, v24, v25 offset0:68 offset1:85
	v_pack_b32_f16 v24, v63, v64
	v_pack_b32_f16 v25, v65, v66
	v_fma_f16 v33, v97, s15, v33
	v_fma_f16 v34, v99, s15, -v34
	v_add_f16_e32 v35, v35, v94
	v_add_f16_e32 v36, v36, v79
	;; [unrolled: 1-line block ×4, first 2 shown]
	ds_write2_b32 v59, v24, v25 offset0:102 offset1:119
	v_pack_b32_f16 v24, v39, v60
	v_pack_b32_f16 v25, v61, v62
	v_add_f16_e32 v31, v31, v87
	v_add_f16_e32 v33, v33, v91
	;; [unrolled: 1-line block ×3, first 2 shown]
	ds_write2_b32 v59, v24, v25 offset0:136 offset1:153
	v_pack_b32_f16 v24, v37, v38
	v_pack_b32_f16 v25, v35, v36
	ds_write2_b32 v59, v24, v25 offset0:170 offset1:187
	v_pack_b32_f16 v24, v33, v34
	v_pack_b32_f16 v25, v31, v32
	;; [unrolled: 3-line block ×3, first 2 shown]
	ds_write2_b32 v59, v24, v25 offset0:238 offset1:255
	v_pack_b32_f16 v24, v68, v69
	ds_write_b32 v59, v24 offset:1088
	s_waitcnt lgkmcnt(0)
	s_barrier
	ds_read2_b32 v[28:29], v19 offset1:34
	ds_read2_b32 v[32:33], v21 offset0:33 offset1:67
	ds_read2_b32 v[30:31], v19 offset0:68 offset1:102
	;; [unrolled: 1-line block ×6, first 2 shown]
	v_add_u32_e32 v71, 0x600, v19
	ds_read2_b32 v[38:39], v71 offset0:109 offset1:143
	v_mov_b32_e32 v21, v17
                                        ; implicit-def: $vgpr72
                                        ; implicit-def: $vgpr73
	s_and_saveexec_b64 s[0:1], vcc
	s_cbranch_execz .LBB0_3
; %bb.2:
	ds_read_b32 v68, v19 offset:1088
	ds_read_b32 v72, v19 offset:2244
	s_mov_b64 s[12:13], 0x110
	v_lshl_add_u64 v[22:23], v[16:17], 0, s[12:13]
	s_waitcnt lgkmcnt(1)
	v_lshrrev_b32_e32 v69, 16, v68
	s_waitcnt lgkmcnt(0)
	v_lshrrev_b32_e32 v73, 16, v72
.LBB0_3:
	s_or_b64 exec, exec, s[0:1]
	v_lshlrev_b32_e32 v70, 2, v16
	global_load_dword v60, v70, s[10:11] offset:1088
	global_load_dword v61, v70, s[10:11] offset:1224
	;; [unrolled: 1-line block ×8, first 2 shown]
	v_lshl_add_u64 v[22:23], v[22:23], 2, s[10:11]
	global_load_dword v17, v[22:23], off offset:1088
	s_waitcnt lgkmcnt(6)
	v_lshrrev_b32_e32 v23, 16, v32
	v_lshrrev_b32_e32 v75, 16, v33
	v_lshrrev_b32_e32 v22, 16, v28
	v_lshrrev_b32_e32 v74, 16, v29
	s_waitcnt lgkmcnt(4)
	v_lshrrev_b32_e32 v77, 16, v34
	v_lshrrev_b32_e32 v76, 16, v30
	v_lshrrev_b32_e32 v79, 16, v35
	v_lshrrev_b32_e32 v78, 16, v31
	;; [unrolled: 5-line block ×4, first 2 shown]
	v_lshl_add_u64 v[20:21], s[8:9], 0, v[20:21]
	s_waitcnt vmcnt(8)
	v_mul_f16_sdwa v88, v23, v60 dst_sel:DWORD dst_unused:UNUSED_PAD src0_sel:DWORD src1_sel:WORD_1
	v_mul_f16_sdwa v89, v32, v60 dst_sel:DWORD dst_unused:UNUSED_PAD src0_sel:DWORD src1_sel:WORD_1
	s_waitcnt vmcnt(7)
	v_mul_f16_sdwa v90, v75, v61 dst_sel:DWORD dst_unused:UNUSED_PAD src0_sel:DWORD src1_sel:WORD_1
	v_mul_f16_sdwa v91, v33, v61 dst_sel:DWORD dst_unused:UNUSED_PAD src0_sel:DWORD src1_sel:WORD_1
	v_fma_f16 v32, v32, v60, -v88
	v_fma_f16 v23, v23, v60, v89
	v_fma_f16 v33, v33, v61, -v90
	v_fma_f16 v75, v75, v61, v91
	s_waitcnt vmcnt(6)
	v_mul_f16_sdwa v92, v77, v62 dst_sel:DWORD dst_unused:UNUSED_PAD src0_sel:DWORD src1_sel:WORD_1
	v_mul_f16_sdwa v93, v34, v62 dst_sel:DWORD dst_unused:UNUSED_PAD src0_sel:DWORD src1_sel:WORD_1
	v_sub_f16_e32 v88, v28, v32
	v_sub_f16_e32 v23, v22, v23
	;; [unrolled: 1-line block ×4, first 2 shown]
	v_fma_f16 v34, v34, v62, -v92
	v_fma_f16 v77, v77, v62, v93
	v_fma_f16 v28, v28, 2.0, -v88
	v_fma_f16 v22, v22, 2.0, -v23
	;; [unrolled: 1-line block ×4, first 2 shown]
	v_lshl_add_u32 v32, v16, 2, v57
	v_pack_b32_f16 v23, v88, v23
	s_waitcnt vmcnt(5)
	v_mul_f16_sdwa v94, v79, v63 dst_sel:DWORD dst_unused:UNUSED_PAD src0_sel:DWORD src1_sel:WORD_1
	v_mul_f16_sdwa v95, v35, v63 dst_sel:DWORD dst_unused:UNUSED_PAD src0_sel:DWORD src1_sel:WORD_1
	v_sub_f16_e32 v90, v30, v34
	v_sub_f16_e32 v77, v76, v77
	v_pack_b32_f16 v22, v28, v22
	ds_write_b32 v32, v23 offset:1156
	v_pack_b32_f16 v23, v29, v74
	v_fma_f16 v35, v35, v63, -v94
	v_fma_f16 v79, v79, v63, v95
	v_fma_f16 v30, v30, 2.0, -v90
	v_fma_f16 v76, v76, 2.0, -v77
	ds_write2_b32 v19, v22, v23 offset1:34
	v_pack_b32_f16 v22, v89, v75
	s_waitcnt vmcnt(4)
	v_mul_f16_sdwa v96, v81, v64 dst_sel:DWORD dst_unused:UNUSED_PAD src0_sel:DWORD src1_sel:WORD_1
	v_mul_f16_sdwa v97, v36, v64 dst_sel:DWORD dst_unused:UNUSED_PAD src0_sel:DWORD src1_sel:WORD_1
	v_sub_f16_e32 v35, v31, v35
	v_sub_f16_e32 v79, v78, v79
	ds_write_b32 v32, v22 offset:1292
	v_pack_b32_f16 v22, v30, v76
	v_fma_f16 v36, v36, v64, -v96
	v_fma_f16 v81, v81, v64, v97
	v_fma_f16 v31, v31, 2.0, -v35
	v_fma_f16 v78, v78, 2.0, -v79
	ds_write_b32 v19, v22 offset:272
	v_pack_b32_f16 v22, v90, v77
	s_waitcnt vmcnt(3)
	v_mul_f16_sdwa v98, v83, v65 dst_sel:DWORD dst_unused:UNUSED_PAD src0_sel:DWORD src1_sel:WORD_1
	v_mul_f16_sdwa v99, v37, v65 dst_sel:DWORD dst_unused:UNUSED_PAD src0_sel:DWORD src1_sel:WORD_1
	v_sub_f16_e32 v36, v26, v36
	v_sub_f16_e32 v81, v80, v81
	ds_write_b32 v32, v22 offset:1428
	v_pack_b32_f16 v22, v31, v78
	v_fma_f16 v37, v37, v65, -v98
	v_fma_f16 v83, v83, v65, v99
	v_fma_f16 v26, v26, 2.0, -v36
	v_fma_f16 v80, v80, 2.0, -v81
	ds_write_b32 v19, v22 offset:408
	v_pack_b32_f16 v22, v35, v79
	s_waitcnt vmcnt(2)
	v_mul_f16_sdwa v100, v85, v66 dst_sel:DWORD dst_unused:UNUSED_PAD src0_sel:DWORD src1_sel:WORD_1
	v_mul_f16_sdwa v101, v38, v66 dst_sel:DWORD dst_unused:UNUSED_PAD src0_sel:DWORD src1_sel:WORD_1
	s_waitcnt vmcnt(1)
	v_mul_f16_sdwa v102, v87, v67 dst_sel:DWORD dst_unused:UNUSED_PAD src0_sel:DWORD src1_sel:WORD_1
	v_mul_f16_sdwa v103, v39, v67 dst_sel:DWORD dst_unused:UNUSED_PAD src0_sel:DWORD src1_sel:WORD_1
	v_sub_f16_e32 v37, v27, v37
	v_sub_f16_e32 v83, v82, v83
	ds_write_b32 v32, v22 offset:1564
	v_pack_b32_f16 v22, v26, v80
	v_fma_f16 v38, v38, v66, -v100
	v_fma_f16 v85, v85, v66, v101
	v_fma_f16 v39, v39, v67, -v102
	v_fma_f16 v87, v87, v67, v103
	v_fma_f16 v27, v27, 2.0, -v37
	v_fma_f16 v82, v82, 2.0, -v83
	ds_write_b32 v19, v22 offset:544
	v_pack_b32_f16 v22, v36, v81
	v_sub_f16_e32 v38, v24, v38
	v_sub_f16_e32 v85, v84, v85
	;; [unrolled: 1-line block ×4, first 2 shown]
	ds_write_b32 v32, v22 offset:1700
	v_pack_b32_f16 v22, v27, v82
	s_waitcnt vmcnt(0)
	v_mul_f16_sdwa v104, v73, v17 dst_sel:DWORD dst_unused:UNUSED_PAD src0_sel:DWORD src1_sel:WORD_1
	v_mul_f16_sdwa v105, v72, v17 dst_sel:DWORD dst_unused:UNUSED_PAD src0_sel:DWORD src1_sel:WORD_1
	v_fma_f16 v24, v24, 2.0, -v38
	v_fma_f16 v84, v84, 2.0, -v85
	;; [unrolled: 1-line block ×4, first 2 shown]
	ds_write_b32 v19, v22 offset:680
	v_pack_b32_f16 v22, v37, v83
	v_fma_f16 v72, v72, v17, -v104
	v_fma_f16 v73, v73, v17, v105
	ds_write_b32 v32, v22 offset:1836
	v_pack_b32_f16 v22, v24, v84
	v_pack_b32_f16 v24, v25, v86
	v_sub_f16_e32 v33, v68, v72
	v_sub_f16_e32 v34, v69, v73
	v_pack_b32_f16 v23, v38, v85
	ds_write2_b32 v19, v22, v24 offset0:204 offset1:238
	v_pack_b32_f16 v22, v39, v87
	ds_write2_b32 v71, v23, v22 offset0:109 offset1:143
	s_and_saveexec_b64 s[0:1], vcc
	s_cbranch_execz .LBB0_5
; %bb.4:
	v_fma_f16 v22, v68, 2.0, -v33
	v_fma_f16 v23, v69, 2.0, -v34
	v_pack_b32_f16 v22, v22, v23
	s_mov_b32 s10, 0x5040100
	ds_write_b32 v19, v22 offset:1088
	v_perm_b32 v22, v34, v33, s10
	ds_write_b32 v32, v22 offset:2244
.LBB0_5:
	s_or_b64 exec, exec, s[0:1]
	s_waitcnt lgkmcnt(0)
	s_barrier
	global_load_dword v30, v[20:21], off offset:2312
	s_add_u32 s0, s8, 0x908
	s_addc_u32 s1, s9, 0
	global_load_dword v31, v70, s[0:1] offset:136
	global_load_dword v36, v70, s[0:1] offset:272
	;; [unrolled: 1-line block ×10, first 2 shown]
	ds_read2_b32 v[20:21], v19 offset1:34
	ds_read2_b32 v[22:23], v19 offset0:68 offset1:102
	ds_read2_b32 v[24:25], v19 offset0:136 offset1:170
	;; [unrolled: 1-line block ×3, first 2 shown]
	global_load_dword v73, v70, s[0:1] offset:1496
	v_add_u32_e32 v35, 0x400, v19
	ds_read2_b32 v[28:29], v35 offset0:16 offset1:50
	global_load_dword v74, v70, s[0:1] offset:1632
	global_load_dword v75, v70, s[0:1] offset:1768
	;; [unrolled: 1-line block ×5, first 2 shown]
	s_waitcnt lgkmcnt(4)
	v_lshrrev_b32_e32 v70, 16, v20
	v_lshrrev_b32_e32 v79, 16, v21
	s_waitcnt lgkmcnt(3)
	v_lshrrev_b32_e32 v80, 16, v22
	v_lshrrev_b32_e32 v81, 16, v23
	;; [unrolled: 3-line block ×4, first 2 shown]
	s_waitcnt lgkmcnt(0)
	v_lshrrev_b32_e32 v86, 16, v28
	s_movk_i32 s17, 0x3b76
	s_movk_i32 s13, 0x39e9
	;; [unrolled: 1-line block ×4, first 2 shown]
	s_mov_b32 s19, 0xb461
	s_mov_b32 s22, 0xb8d2
	;; [unrolled: 1-line block ×4, first 2 shown]
	s_movk_i32 s18, 0x35c8
	s_mov_b32 s12, 0xb964
	s_movk_i32 s14, 0x3964
	s_mov_b32 s9, 0xbb29
	;; [unrolled: 2-line block ×7, first 2 shown]
	s_mov_b32 s28, 0xbbdd
	s_movk_i32 s29, 0x31e1
	s_mov_b32 s30, 0xffff
	s_waitcnt vmcnt(13)
	v_mul_f16_sdwa v89, v81, v37 dst_sel:DWORD dst_unused:UNUSED_PAD src0_sel:DWORD src1_sel:WORD_1
	v_mul_f16_sdwa v90, v23, v37 dst_sel:DWORD dst_unused:UNUSED_PAD src0_sel:DWORD src1_sel:WORD_1
	s_waitcnt vmcnt(12)
	v_mul_f16_sdwa v91, v82, v38 dst_sel:DWORD dst_unused:UNUSED_PAD src0_sel:DWORD src1_sel:WORD_1
	v_mul_f16_sdwa v92, v24, v38 dst_sel:DWORD dst_unused:UNUSED_PAD src0_sel:DWORD src1_sel:WORD_1
	;; [unrolled: 1-line block ×4, first 2 shown]
	v_fma_f16 v20, v20, v30, -v87
	v_fma_f16 v30, v70, v30, v88
	v_pack_b32_f16 v20, v20, v30
	v_mul_f16_sdwa v30, v79, v31 dst_sel:DWORD dst_unused:UNUSED_PAD src0_sel:DWORD src1_sel:WORD_1
	v_mul_f16_sdwa v70, v21, v31 dst_sel:DWORD dst_unused:UNUSED_PAD src0_sel:DWORD src1_sel:WORD_1
	;; [unrolled: 1-line block ×4, first 2 shown]
	s_waitcnt vmcnt(11)
	v_mul_f16_sdwa v93, v83, v39 dst_sel:DWORD dst_unused:UNUSED_PAD src0_sel:DWORD src1_sel:WORD_1
	v_mul_f16_sdwa v94, v25, v39 dst_sel:DWORD dst_unused:UNUSED_PAD src0_sel:DWORD src1_sel:WORD_1
	s_waitcnt vmcnt(10)
	v_mul_f16_sdwa v95, v84, v57 dst_sel:DWORD dst_unused:UNUSED_PAD src0_sel:DWORD src1_sel:WORD_1
	v_mul_f16_sdwa v96, v26, v57 dst_sel:DWORD dst_unused:UNUSED_PAD src0_sel:DWORD src1_sel:WORD_1
	;; [unrolled: 3-line block ×3, first 2 shown]
	v_fma_f16 v21, v21, v31, -v30
	v_fma_f16 v30, v79, v31, v70
	v_fma_f16 v22, v22, v36, -v87
	v_fma_f16 v31, v80, v36, v88
	;; [unrolled: 2-line block ×7, first 2 shown]
	v_pack_b32_f16 v21, v21, v30
	v_pack_b32_f16 v22, v22, v31
	;; [unrolled: 1-line block ×7, first 2 shown]
	ds_write2_b32 v19, v20, v21 offset1:34
	ds_write2_b32 v19, v22, v23 offset0:68 offset1:102
	ds_write2_b32 v19, v24, v25 offset0:136 offset1:170
	;; [unrolled: 1-line block ×3, first 2 shown]
	v_lshrrev_b32_e32 v22, 16, v29
	s_waitcnt vmcnt(7)
	v_mul_f16_sdwa v20, v22, v71 dst_sel:DWORD dst_unused:UNUSED_PAD src0_sel:DWORD src1_sel:WORD_1
	v_fma_f16 v23, v29, v71, -v20
	ds_read2_b32 v[20:21], v35 offset0:84 offset1:118
	v_mul_f16_sdwa v99, v86, v69 dst_sel:DWORD dst_unused:UNUSED_PAD src0_sel:DWORD src1_sel:WORD_1
	v_mul_f16_sdwa v100, v28, v69 dst_sel:DWORD dst_unused:UNUSED_PAD src0_sel:DWORD src1_sel:WORD_1
	;; [unrolled: 1-line block ×3, first 2 shown]
	v_fma_f16 v28, v28, v69, -v99
	v_fma_f16 v68, v86, v69, v100
	v_fma_f16 v22, v22, v71, v24
	v_pack_b32_f16 v28, v28, v68
	v_pack_b32_f16 v22, v23, v22
	ds_write2_b32 v35, v28, v22 offset0:16 offset1:50
	s_waitcnt lgkmcnt(1)
	v_lshrrev_b32_e32 v22, 16, v20
	s_waitcnt vmcnt(6)
	v_mul_f16_sdwa v23, v22, v72 dst_sel:DWORD dst_unused:UNUSED_PAD src0_sel:DWORD src1_sel:WORD_1
	v_fma_f16 v23, v20, v72, -v23
	v_mul_f16_sdwa v20, v20, v72 dst_sel:DWORD dst_unused:UNUSED_PAD src0_sel:DWORD src1_sel:WORD_1
	v_lshrrev_b32_e32 v24, 16, v21
	v_fma_f16 v20, v22, v72, v20
	s_waitcnt vmcnt(5)
	v_mul_f16_sdwa v22, v24, v73 dst_sel:DWORD dst_unused:UNUSED_PAD src0_sel:DWORD src1_sel:WORD_1
	v_pack_b32_f16 v20, v23, v20
	v_fma_f16 v25, v21, v73, -v22
	ds_read2_b32 v[22:23], v35 offset0:152 offset1:186
	v_mul_f16_sdwa v21, v21, v73 dst_sel:DWORD dst_unused:UNUSED_PAD src0_sel:DWORD src1_sel:WORD_1
	v_fma_f16 v21, v24, v73, v21
	v_pack_b32_f16 v21, v25, v21
	ds_write2_b32 v35, v20, v21 offset0:84 offset1:118
	s_waitcnt lgkmcnt(1)
	v_lshrrev_b32_e32 v20, 16, v22
	s_waitcnt vmcnt(4)
	v_mul_f16_sdwa v21, v20, v74 dst_sel:DWORD dst_unused:UNUSED_PAD src0_sel:DWORD src1_sel:WORD_1
	v_fma_f16 v21, v22, v74, -v21
	v_mul_f16_sdwa v22, v22, v74 dst_sel:DWORD dst_unused:UNUSED_PAD src0_sel:DWORD src1_sel:WORD_1
	v_fma_f16 v20, v20, v74, v22
	v_lshrrev_b32_e32 v24, 16, v23
	v_pack_b32_f16 v22, v21, v20
	s_waitcnt vmcnt(3)
	v_mul_f16_sdwa v20, v24, v75 dst_sel:DWORD dst_unused:UNUSED_PAD src0_sel:DWORD src1_sel:WORD_1
	v_fma_f16 v25, v23, v75, -v20
	ds_read2_b32 v[20:21], v35 offset0:220 offset1:254
	v_mul_f16_sdwa v23, v23, v75 dst_sel:DWORD dst_unused:UNUSED_PAD src0_sel:DWORD src1_sel:WORD_1
	v_fma_f16 v23, v24, v75, v23
	v_pack_b32_f16 v23, v25, v23
	ds_write2_b32 v35, v22, v23 offset0:152 offset1:186
	s_waitcnt lgkmcnt(1)
	v_lshrrev_b32_e32 v22, 16, v20
	s_waitcnt vmcnt(2)
	v_mul_f16_sdwa v23, v22, v76 dst_sel:DWORD dst_unused:UNUSED_PAD src0_sel:DWORD src1_sel:WORD_1
	v_fma_f16 v23, v20, v76, -v23
	v_mul_f16_sdwa v20, v20, v76 dst_sel:DWORD dst_unused:UNUSED_PAD src0_sel:DWORD src1_sel:WORD_1
	v_fma_f16 v20, v22, v76, v20
	v_lshrrev_b32_e32 v22, 16, v21
	ds_read_b32 v24, v19 offset:2176
	v_pack_b32_f16 v20, v23, v20
	s_waitcnt vmcnt(1)
	v_mul_f16_sdwa v23, v22, v77 dst_sel:DWORD dst_unused:UNUSED_PAD src0_sel:DWORD src1_sel:WORD_1
	v_fma_f16 v23, v21, v77, -v23
	v_mul_f16_sdwa v21, v21, v77 dst_sel:DWORD dst_unused:UNUSED_PAD src0_sel:DWORD src1_sel:WORD_1
	v_fma_f16 v21, v22, v77, v21
	v_pack_b32_f16 v21, v23, v21
	ds_write2_b32 v35, v20, v21 offset0:220 offset1:254
	s_waitcnt lgkmcnt(1)
	v_lshrrev_b32_e32 v20, 16, v24
	s_waitcnt vmcnt(0)
	v_mul_f16_sdwa v21, v20, v78 dst_sel:DWORD dst_unused:UNUSED_PAD src0_sel:DWORD src1_sel:WORD_1
	v_mul_f16_sdwa v22, v24, v78 dst_sel:DWORD dst_unused:UNUSED_PAD src0_sel:DWORD src1_sel:WORD_1
	v_fma_f16 v21, v24, v78, -v21
	v_fma_f16 v20, v20, v78, v22
	v_pack_b32_f16 v20, v21, v20
	ds_write_b32 v19, v20 offset:2176
	s_waitcnt lgkmcnt(0)
	s_barrier
	ds_read2_b32 v[38:39], v19 offset1:34
	ds_read_b32 v36, v19 offset:2176
	ds_read2_b32 v[68:69], v19 offset0:68 offset1:102
	ds_read2_b32 v[30:31], v19 offset0:136 offset1:170
	;; [unrolled: 1-line block ×7, first 2 shown]
	s_waitcnt lgkmcnt(7)
	v_pk_add_f16 v57, v36, v39
	v_pk_add_f16 v37, v38, v39
	v_pk_add_f16 v39, v39, v36 neg_lo:[0,1] neg_hi:[0,1]
	v_mul_f16_sdwa v72, v57, s17 dst_sel:DWORD dst_unused:UNUSED_PAD src0_sel:WORD_1 src1_sel:DWORD
	v_mul_f16_sdwa v76, v57, s13 dst_sel:DWORD dst_unused:UNUSED_PAD src0_sel:WORD_1 src1_sel:DWORD
	;; [unrolled: 1-line block ×8, first 2 shown]
	v_fma_f16 v73, v39, s18, v72
	v_fma_f16 v72, v39, s16, v72
	v_mul_f16_sdwa v74, v39, s12 dst_sel:DWORD dst_unused:UNUSED_PAD src0_sel:WORD_1 src1_sel:DWORD
	v_fma_f16 v77, v39, s14, v76
	v_fma_f16 v76, v39, s12, v76
	v_mul_f16_sdwa v78, v39, s9 dst_sel:DWORD dst_unused:UNUSED_PAD src0_sel:WORD_1 src1_sel:DWORD
	;; [unrolled: 3-line block ×6, first 2 shown]
	v_fma_f16 v97, v39, s26, v96
	v_fma_f16 v96, v39, s24, v96
	v_pk_mul_f16 v39, v39, s27 op_sel_hi:[1,0]
	v_fma_f16 v71, v57, s17, v70
	v_fma_f16 v70, v57, s17, -v70
	v_fma_f16 v75, v57, s13, v74
	v_fma_f16 v74, v57, s13, -v74
	;; [unrolled: 2-line block ×7, first 2 shown]
	v_pk_fma_f16 v98, v57, s28, v39 op_sel:[0,0,1] op_sel_hi:[1,0,0]
	v_pk_fma_f16 v39, v57, s28, v39 op_sel:[0,0,1] op_sel_hi:[1,0,0] neg_lo:[0,0,1] neg_hi:[0,0,1]
	s_waitcnt lgkmcnt(0)
	v_pk_add_f16 v57, v68, v23 neg_lo:[0,1] neg_hi:[0,1]
	v_pk_add_f16 v37, v37, v68
	v_add_f16_e32 v71, v38, v71
	v_add_f16_sdwa v73, v38, v73 dst_sel:DWORD dst_unused:UNUSED_PAD src0_sel:WORD_1 src1_sel:DWORD
	v_add_f16_e32 v70, v38, v70
	v_add_f16_sdwa v72, v38, v72 dst_sel:DWORD dst_unused:UNUSED_PAD src0_sel:WORD_1 src1_sel:DWORD
	;; [unrolled: 2-line block ×14, first 2 shown]
	v_pk_add_f16 v98, v38, v98
	v_pk_add_f16 v38, v38, v39
	;; [unrolled: 1-line block ×3, first 2 shown]
	v_mul_f16_sdwa v68, v57, s12 dst_sel:DWORD dst_unused:UNUSED_PAD src0_sel:WORD_1 src1_sel:DWORD
	v_fma_f16 v99, v39, s13, v68
	v_add_f16_e32 v71, v99, v71
	v_mul_f16_sdwa v99, v39, s13 dst_sel:DWORD dst_unused:UNUSED_PAD src0_sel:WORD_1 src1_sel:DWORD
	v_fma_f16 v68, v39, s13, -v68
	v_add_f16_e32 v68, v68, v70
	v_fma_f16 v70, v57, s12, v99
	v_add_f16_e32 v70, v70, v72
	v_mul_f16_sdwa v72, v57, s0 dst_sel:DWORD dst_unused:UNUSED_PAD src0_sel:WORD_1 src1_sel:DWORD
	v_fma_f16 v100, v57, s14, v99
	v_fma_f16 v99, v39, s1, v72
	v_add_f16_e32 v75, v99, v75
	v_mul_f16_sdwa v99, v39, s1 dst_sel:DWORD dst_unused:UNUSED_PAD src0_sel:WORD_1 src1_sel:DWORD
	v_fma_f16 v72, v39, s1, -v72
	v_add_f16_e32 v72, v72, v74
	v_fma_f16 v74, v57, s0, v99
	v_add_f16_e32 v74, v74, v76
	v_mul_f16_sdwa v76, v57, s21 dst_sel:DWORD dst_unused:UNUSED_PAD src0_sel:WORD_1 src1_sel:DWORD
	v_add_f16_e32 v73, v100, v73
	v_fma_f16 v100, v57, s8, v99
	v_fma_f16 v99, v39, s22, v76
	v_add_f16_e32 v79, v99, v79
	v_mul_f16_sdwa v99, v39, s22 dst_sel:DWORD dst_unused:UNUSED_PAD src0_sel:WORD_1 src1_sel:DWORD
	v_fma_f16 v76, v39, s22, -v76
	v_add_f16_e32 v76, v76, v78
	v_fma_f16 v78, v57, s21, v99
	v_add_f16_e32 v78, v78, v80
	v_mul_f16_sdwa v80, v57, s27 dst_sel:DWORD dst_unused:UNUSED_PAD src0_sel:WORD_1 src1_sel:DWORD
	v_add_f16_e32 v77, v100, v77
	;; [unrolled: 10-line block ×5, first 2 shown]
	v_fma_f16 v100, v57, s15, v99
	v_fma_f16 v99, v39, s10, v92
	v_add_f16_e32 v95, v99, v95
	v_mul_f16_sdwa v99, v39, s10 dst_sel:DWORD dst_unused:UNUSED_PAD src0_sel:WORD_1 src1_sel:DWORD
	v_fma_f16 v92, v39, s10, -v92
	v_add_f16_e32 v93, v100, v93
	v_fma_f16 v100, v57, s9, v99
	v_add_f16_e32 v92, v92, v94
	v_fma_f16 v94, v57, s11, v99
	v_pk_mul_f16 v57, v57, s18 op_sel_hi:[1,0]
	v_add_f16_e32 v94, v94, v96
	v_pk_fma_f16 v96, v39, s17, v57 op_sel:[0,0,1] op_sel_hi:[1,0,0]
	v_pk_fma_f16 v39, v39, s17, v57 op_sel:[0,0,1] op_sel_hi:[1,0,0] neg_lo:[0,0,1] neg_hi:[0,0,1]
	v_pk_add_f16 v57, v69, v22 neg_lo:[0,1] neg_hi:[0,1]
	v_pk_add_f16 v37, v37, v69
	v_pk_add_f16 v38, v39, v38
	v_pk_add_f16 v39, v22, v69
	v_mul_f16_sdwa v69, v57, s9 dst_sel:DWORD dst_unused:UNUSED_PAD src0_sel:WORD_1 src1_sel:DWORD
	v_pk_add_f16 v96, v96, v98
	v_fma_f16 v98, v39, s10, v69
	v_add_f16_e32 v71, v98, v71
	v_mul_f16_sdwa v98, v39, s10 dst_sel:DWORD dst_unused:UNUSED_PAD src0_sel:WORD_1 src1_sel:DWORD
	v_fma_f16 v69, v39, s10, -v69
	v_add_f16_e32 v68, v69, v68
	v_fma_f16 v69, v57, s9, v98
	v_add_f16_e32 v69, v69, v70
	v_mul_f16_sdwa v70, v57, s21 dst_sel:DWORD dst_unused:UNUSED_PAD src0_sel:WORD_1 src1_sel:DWORD
	v_fma_f16 v99, v57, s11, v98
	v_fma_f16 v98, v39, s22, v70
	v_add_f16_e32 v75, v98, v75
	v_mul_f16_sdwa v98, v39, s22 dst_sel:DWORD dst_unused:UNUSED_PAD src0_sel:WORD_1 src1_sel:DWORD
	v_fma_f16 v70, v39, s22, -v70
	v_add_f16_e32 v70, v70, v72
	v_fma_f16 v72, v57, s21, v98
	v_add_f16_e32 v72, v72, v74
	v_mul_f16_sdwa v74, v57, s29 dst_sel:DWORD dst_unused:UNUSED_PAD src0_sel:WORD_1 src1_sel:DWORD
	v_add_f16_e32 v73, v99, v73
	v_fma_f16 v99, v57, s23, v98
	v_fma_f16 v98, v39, s28, v74
	v_add_f16_e32 v79, v98, v79
	v_mul_f16_sdwa v98, v39, s28 dst_sel:DWORD dst_unused:UNUSED_PAD src0_sel:WORD_1 src1_sel:DWORD
	v_fma_f16 v74, v39, s28, -v74
	v_add_f16_e32 v74, v74, v76
	v_fma_f16 v76, v57, s29, v98
	v_add_f16_e32 v76, v76, v78
	v_mul_f16_sdwa v78, v57, s20 dst_sel:DWORD dst_unused:UNUSED_PAD src0_sel:WORD_1 src1_sel:DWORD
	v_add_f16_e32 v77, v99, v77
	v_fma_f16 v99, v57, s27, v98
	v_fma_f16 v98, v39, s19, v78
	v_add_f16_e32 v83, v98, v83
	v_mul_f16_sdwa v98, v39, s19 dst_sel:DWORD dst_unused:UNUSED_PAD src0_sel:WORD_1 src1_sel:DWORD
	v_fma_f16 v78, v39, s19, -v78
	v_add_f16_e32 v78, v78, v80
	v_fma_f16 v80, v57, s20, v98
	v_add_f16_e32 v80, v80, v82
	v_mul_f16_sdwa v82, v57, s14 dst_sel:DWORD dst_unused:UNUSED_PAD src0_sel:WORD_1 src1_sel:DWORD
	v_add_f16_e32 v81, v99, v81
	v_fma_f16 v99, v57, s15, v98
	v_fma_f16 v98, v39, s13, v82
	v_add_f16_e32 v87, v98, v87
	v_mul_f16_sdwa v98, v39, s13 dst_sel:DWORD dst_unused:UNUSED_PAD src0_sel:WORD_1 src1_sel:DWORD
	v_fma_f16 v82, v39, s13, -v82
	v_add_f16_e32 v82, v82, v84
	v_fma_f16 v84, v57, s14, v98
	v_add_f16_e32 v84, v84, v86
	v_mul_f16_sdwa v86, v57, s16 dst_sel:DWORD dst_unused:UNUSED_PAD src0_sel:WORD_1 src1_sel:DWORD
	v_add_f16_e32 v85, v99, v85
	v_fma_f16 v99, v57, s12, v98
	v_fma_f16 v98, v39, s17, v86
	v_add_f16_e32 v91, v98, v91
	v_mul_f16_sdwa v98, v39, s17 dst_sel:DWORD dst_unused:UNUSED_PAD src0_sel:WORD_1 src1_sel:DWORD
	v_fma_f16 v86, v39, s17, -v86
	v_add_f16_e32 v86, v86, v88
	v_fma_f16 v88, v57, s16, v98
	v_add_f16_e32 v88, v88, v90
	v_mul_f16_sdwa v90, v57, s0 dst_sel:DWORD dst_unused:UNUSED_PAD src0_sel:WORD_1 src1_sel:DWORD
	v_add_f16_e32 v89, v99, v89
	v_fma_f16 v99, v57, s18, v98
	v_fma_f16 v98, v39, s1, v90
	v_add_f16_e32 v95, v98, v95
	v_mul_f16_sdwa v98, v39, s1 dst_sel:DWORD dst_unused:UNUSED_PAD src0_sel:WORD_1 src1_sel:DWORD
	v_fma_f16 v90, v39, s1, -v90
	v_add_f16_e32 v93, v99, v93
	v_fma_f16 v99, v57, s8, v98
	v_add_f16_e32 v90, v90, v92
	v_fma_f16 v92, v57, s0, v98
	v_pk_mul_f16 v57, v57, s24 op_sel_hi:[1,0]
	v_add_f16_e32 v92, v92, v94
	v_pk_fma_f16 v94, v39, s25, v57 op_sel:[0,0,1] op_sel_hi:[1,0,0]
	v_pk_fma_f16 v39, v39, s25, v57 op_sel:[0,0,1] op_sel_hi:[1,0,0] neg_lo:[0,0,1] neg_hi:[0,0,1]
	v_pk_add_f16 v37, v37, v30
	v_pk_add_f16 v38, v39, v38
	;; [unrolled: 1-line block ×3, first 2 shown]
	v_pk_add_f16 v30, v30, v25 neg_lo:[0,1] neg_hi:[0,1]
	v_pk_add_f16 v94, v94, v96
	v_mul_f16_sdwa v57, v30, s0 dst_sel:DWORD dst_unused:UNUSED_PAD src0_sel:WORD_1 src1_sel:DWORD
	v_fma_f16 v96, v39, s1, v57
	v_add_f16_e32 v71, v96, v71
	v_mul_f16_sdwa v96, v39, s1 dst_sel:DWORD dst_unused:UNUSED_PAD src0_sel:WORD_1 src1_sel:DWORD
	v_fma_f16 v57, v39, s1, -v57
	v_add_f16_e32 v57, v57, v68
	v_fma_f16 v68, v30, s0, v96
	v_add_f16_e32 v68, v68, v69
	v_mul_f16_sdwa v69, v30, s27 dst_sel:DWORD dst_unused:UNUSED_PAD src0_sel:WORD_1 src1_sel:DWORD
	v_fma_f16 v98, v30, s8, v96
	v_fma_f16 v96, v39, s28, v69
	v_add_f16_e32 v75, v96, v75
	v_mul_f16_sdwa v96, v39, s28 dst_sel:DWORD dst_unused:UNUSED_PAD src0_sel:WORD_1 src1_sel:DWORD
	v_fma_f16 v69, v39, s28, -v69
	v_add_f16_e32 v69, v69, v70
	v_fma_f16 v70, v30, s27, v96
	v_add_f16_e32 v70, v70, v72
	v_mul_f16_sdwa v72, v30, s20 dst_sel:DWORD dst_unused:UNUSED_PAD src0_sel:WORD_1 src1_sel:DWORD
	v_add_f16_e32 v73, v98, v73
	v_fma_f16 v98, v30, s29, v96
	v_fma_f16 v96, v39, s19, v72
	v_add_f16_e32 v79, v96, v79
	v_mul_f16_sdwa v96, v39, s19 dst_sel:DWORD dst_unused:UNUSED_PAD src0_sel:WORD_1 src1_sel:DWORD
	v_fma_f16 v72, v39, s19, -v72
	v_add_f16_e32 v72, v72, v74
	v_fma_f16 v74, v30, s20, v96
	v_add_f16_e32 v74, v74, v76
	v_mul_f16_sdwa v76, v30, s18 dst_sel:DWORD dst_unused:UNUSED_PAD src0_sel:WORD_1 src1_sel:DWORD
	v_add_f16_e32 v77, v98, v77
	;; [unrolled: 10-line block ×4, first 2 shown]
	v_fma_f16 v98, v30, s11, v96
	v_fma_f16 v96, v39, s25, v84
	v_pk_add_f16 v37, v37, v31
	v_add_f16_e32 v91, v96, v91
	v_mul_f16_sdwa v96, v39, s25 dst_sel:DWORD dst_unused:UNUSED_PAD src0_sel:WORD_1 src1_sel:DWORD
	v_fma_f16 v84, v39, s25, -v84
	v_pk_add_f16 v37, v37, v26
	v_add_f16_e32 v84, v84, v86
	v_fma_f16 v86, v30, s24, v96
	v_pk_add_f16 v37, v37, v27
	v_add_f16_e32 v86, v86, v88
	v_mul_f16_sdwa v88, v30, s23 dst_sel:DWORD dst_unused:UNUSED_PAD src0_sel:WORD_1 src1_sel:DWORD
	v_pk_add_f16 v37, v37, v20
	v_add_f16_e32 v89, v98, v89
	v_fma_f16 v98, v30, s26, v96
	v_fma_f16 v96, v39, s22, v88
	v_pk_add_f16 v37, v37, v21
	v_add_f16_e32 v95, v96, v95
	v_mul_f16_sdwa v96, v39, s22 dst_sel:DWORD dst_unused:UNUSED_PAD src0_sel:WORD_1 src1_sel:DWORD
	v_fma_f16 v88, v39, s22, -v88
	v_pk_add_f16 v37, v37, v28
	v_add_f16_e32 v93, v98, v93
	v_fma_f16 v98, v30, s21, v96
	v_add_f16_e32 v88, v88, v90
	v_fma_f16 v90, v30, s23, v96
	v_pk_mul_f16 v30, v30, s14 op_sel_hi:[1,0]
	v_pk_add_f16 v37, v37, v29
	v_add_f16_e32 v90, v90, v92
	v_pk_fma_f16 v92, v39, s13, v30 op_sel:[0,0,1] op_sel_hi:[1,0,0]
	v_pk_fma_f16 v30, v39, s13, v30 op_sel:[0,0,1] op_sel_hi:[1,0,0] neg_lo:[0,0,1] neg_hi:[0,0,1]
	v_pk_add_f16 v37, v37, v24
	v_pk_add_f16 v30, v30, v38
	;; [unrolled: 1-line block ×3, first 2 shown]
	v_pk_add_f16 v24, v31, v24 neg_lo:[0,1] neg_hi:[0,1]
	v_pk_add_f16 v92, v92, v94
	v_mul_f16_sdwa v31, v24, s15 dst_sel:DWORD dst_unused:UNUSED_PAD src0_sel:WORD_1 src1_sel:DWORD
	v_fma_f16 v39, v38, s19, v31
	v_add_f16_e32 v39, v39, v71
	v_mul_f16_sdwa v71, v38, s19 dst_sel:DWORD dst_unused:UNUSED_PAD src0_sel:WORD_1 src1_sel:DWORD
	v_fma_f16 v31, v38, s19, -v31
	v_add_f16_e32 v31, v31, v57
	v_fma_f16 v57, v24, s15, v71
	v_add_f16_e32 v57, v57, v68
	v_mul_f16_sdwa v68, v24, s26 dst_sel:DWORD dst_unused:UNUSED_PAD src0_sel:WORD_1 src1_sel:DWORD
	v_fma_f16 v94, v24, s20, v71
	v_fma_f16 v71, v38, s25, v68
	v_add_f16_e32 v71, v71, v75
	v_mul_f16_sdwa v75, v38, s25 dst_sel:DWORD dst_unused:UNUSED_PAD src0_sel:WORD_1 src1_sel:DWORD
	v_fma_f16 v68, v38, s25, -v68
	v_add_f16_e32 v68, v68, v69
	v_fma_f16 v69, v24, s26, v75
	v_add_f16_e32 v69, v69, v70
	v_mul_f16_sdwa v70, v24, s14 dst_sel:DWORD dst_unused:UNUSED_PAD src0_sel:WORD_1 src1_sel:DWORD
	v_add_f16_e32 v73, v94, v73
	v_fma_f16 v94, v24, s24, v75
	v_fma_f16 v75, v38, s13, v70
	v_add_f16_e32 v75, v75, v79
	v_mul_f16_sdwa v79, v38, s13 dst_sel:DWORD dst_unused:UNUSED_PAD src0_sel:WORD_1 src1_sel:DWORD
	v_fma_f16 v70, v38, s13, -v70
	v_add_f16_e32 v70, v70, v72
	v_fma_f16 v72, v24, s14, v79
	v_add_f16_e32 v72, v72, v74
	v_mul_f16_sdwa v74, v24, s9 dst_sel:DWORD dst_unused:UNUSED_PAD src0_sel:WORD_1 src1_sel:DWORD
	v_add_f16_e32 v77, v94, v77
	;; [unrolled: 10-line block ×4, first 2 shown]
	v_fma_f16 v94, v24, s29, v87
	v_fma_f16 v87, v38, s1, v82
	v_add_f16_e32 v87, v87, v91
	v_mul_f16_sdwa v91, v38, s1 dst_sel:DWORD dst_unused:UNUSED_PAD src0_sel:WORD_1 src1_sel:DWORD
	v_fma_f16 v82, v38, s1, -v82
	v_add_f16_e32 v82, v82, v84
	v_fma_f16 v84, v24, s8, v91
	v_add_f16_e32 v89, v94, v89
	v_fma_f16 v94, v24, s0, v91
	v_add_f16_e32 v84, v84, v86
	v_mul_f16_sdwa v86, v24, s16 dst_sel:DWORD dst_unused:UNUSED_PAD src0_sel:WORD_1 src1_sel:DWORD
	v_add_f16_e32 v93, v94, v93
	v_fma_f16 v91, v38, s17, v86
	v_mul_f16_sdwa v94, v38, s17 dst_sel:DWORD dst_unused:UNUSED_PAD src0_sel:WORD_1 src1_sel:DWORD
	v_fma_f16 v86, v38, s17, -v86
	v_add_f16_e32 v91, v91, v95
	v_fma_f16 v95, v24, s18, v94
	v_add_f16_e32 v86, v86, v88
	v_fma_f16 v88, v24, s16, v94
	v_pk_mul_f16 v24, v24, s21 op_sel_hi:[1,0]
	v_add_f16_e32 v88, v88, v90
	v_pk_fma_f16 v90, v38, s22, v24 op_sel:[0,0,1] op_sel_hi:[1,0,0]
	v_pk_fma_f16 v24, v38, s22, v24 op_sel:[0,0,1] op_sel_hi:[1,0,0] neg_lo:[0,0,1] neg_hi:[0,0,1]
	v_pk_add_f16 v90, v90, v92
	v_pk_add_f16 v24, v24, v30
	;; [unrolled: 1-line block ×3, first 2 shown]
	v_pk_add_f16 v26, v26, v29 neg_lo:[0,1] neg_hi:[0,1]
	v_pk_add_f16 v25, v37, v25
	v_mul_f16_sdwa v29, v26, s21 dst_sel:DWORD dst_unused:UNUSED_PAD src0_sel:WORD_1 src1_sel:DWORD
	v_fma_f16 v38, v30, s22, v29
	v_add_f16_e32 v38, v38, v39
	v_mul_f16_sdwa v39, v30, s22 dst_sel:DWORD dst_unused:UNUSED_PAD src0_sel:WORD_1 src1_sel:DWORD
	v_fma_f16 v29, v30, s22, -v29
	v_fma_f16 v92, v26, s23, v39
	v_add_f16_e32 v29, v29, v31
	v_fma_f16 v31, v26, s21, v39
	v_mul_f16_sdwa v39, v26, s20 dst_sel:DWORD dst_unused:UNUSED_PAD src0_sel:WORD_1 src1_sel:DWORD
	v_add_f16_e32 v31, v31, v57
	v_fma_f16 v57, v30, s19, v39
	v_add_f16_e32 v57, v57, v71
	v_mul_f16_sdwa v71, v30, s19 dst_sel:DWORD dst_unused:UNUSED_PAD src0_sel:WORD_1 src1_sel:DWORD
	v_fma_f16 v39, v30, s19, -v39
	v_add_f16_e32 v39, v39, v68
	v_fma_f16 v68, v26, s20, v71
	v_add_f16_e32 v68, v68, v69
	v_mul_f16_sdwa v69, v26, s16 dst_sel:DWORD dst_unused:UNUSED_PAD src0_sel:WORD_1 src1_sel:DWORD
	v_add_f16_e32 v73, v92, v73
	v_fma_f16 v92, v26, s15, v71
	v_fma_f16 v71, v30, s17, v69
	v_add_f16_e32 v71, v71, v75
	v_mul_f16_sdwa v75, v30, s17 dst_sel:DWORD dst_unused:UNUSED_PAD src0_sel:WORD_1 src1_sel:DWORD
	v_fma_f16 v69, v30, s17, -v69
	v_add_f16_e32 v69, v69, v70
	v_fma_f16 v70, v26, s16, v75
	v_add_f16_e32 v70, v70, v72
	v_mul_f16_sdwa v72, v26, s24 dst_sel:DWORD dst_unused:UNUSED_PAD src0_sel:WORD_1 src1_sel:DWORD
	v_add_f16_e32 v77, v92, v77
	v_fma_f16 v92, v26, s18, v75
	;; [unrolled: 10-line block ×5, first 2 shown]
	v_fma_f16 v87, v30, s28, v84
	v_add_f16_e32 v87, v87, v91
	v_mul_f16_sdwa v91, v30, s28 dst_sel:DWORD dst_unused:UNUSED_PAD src0_sel:WORD_1 src1_sel:DWORD
	v_fma_f16 v84, v30, s28, -v84
	v_add_f16_e32 v92, v92, v93
	v_fma_f16 v93, v26, s29, v91
	v_add_f16_e32 v84, v84, v86
	v_fma_f16 v86, v26, s27, v91
	v_pk_mul_f16 v26, v26, s11 op_sel_hi:[1,0]
	v_add_f16_e32 v86, v86, v88
	v_pk_fma_f16 v88, v30, s10, v26 op_sel:[0,0,1] op_sel_hi:[1,0,0]
	v_pk_fma_f16 v26, v30, s10, v26 op_sel:[0,0,1] op_sel_hi:[1,0,0] neg_lo:[0,0,1] neg_hi:[0,0,1]
	v_pk_add_f16 v88, v88, v90
	v_pk_add_f16 v24, v26, v24
	;; [unrolled: 1-line block ×3, first 2 shown]
	v_pk_add_f16 v27, v27, v28 neg_lo:[0,1] neg_hi:[0,1]
	v_pk_add_f16 v22, v25, v22
	v_mul_f16_sdwa v28, v27, s24 dst_sel:DWORD dst_unused:UNUSED_PAD src0_sel:WORD_1 src1_sel:DWORD
	v_fma_f16 v30, v26, s25, v28
	v_add_f16_e32 v30, v30, v38
	v_mul_f16_sdwa v38, v26, s25 dst_sel:DWORD dst_unused:UNUSED_PAD src0_sel:WORD_1 src1_sel:DWORD
	v_fma_f16 v28, v26, s25, -v28
	v_add_f16_e32 v28, v28, v29
	v_fma_f16 v29, v27, s24, v38
	v_add_f16_e32 v29, v29, v31
	v_mul_f16_sdwa v31, v27, s11 dst_sel:DWORD dst_unused:UNUSED_PAD src0_sel:WORD_1 src1_sel:DWORD
	v_fma_f16 v90, v27, s26, v38
	v_fma_f16 v38, v26, s10, v31
	v_add_f16_e32 v38, v38, v57
	v_mul_f16_sdwa v57, v26, s10 dst_sel:DWORD dst_unused:UNUSED_PAD src0_sel:WORD_1 src1_sel:DWORD
	v_fma_f16 v31, v26, s10, -v31
	v_add_f16_e32 v73, v90, v73
	v_fma_f16 v90, v27, s9, v57
	v_add_f16_e32 v31, v31, v39
	v_fma_f16 v39, v27, s11, v57
	v_mul_f16_sdwa v57, v27, s0 dst_sel:DWORD dst_unused:UNUSED_PAD src0_sel:WORD_1 src1_sel:DWORD
	v_add_f16_e32 v39, v39, v68
	v_fma_f16 v68, v26, s1, v57
	v_add_f16_e32 v68, v68, v71
	v_mul_f16_sdwa v71, v26, s1 dst_sel:DWORD dst_unused:UNUSED_PAD src0_sel:WORD_1 src1_sel:DWORD
	v_fma_f16 v57, v26, s1, -v57
	v_add_f16_e32 v57, v57, v69
	v_fma_f16 v69, v27, s0, v71
	v_add_f16_e32 v69, v69, v70
	v_mul_f16_sdwa v70, v27, s23 dst_sel:DWORD dst_unused:UNUSED_PAD src0_sel:WORD_1 src1_sel:DWORD
	v_add_f16_e32 v77, v90, v77
	v_fma_f16 v90, v27, s8, v71
	v_fma_f16 v71, v26, s22, v70
	v_add_f16_e32 v71, v71, v75
	v_mul_f16_sdwa v75, v26, s22 dst_sel:DWORD dst_unused:UNUSED_PAD src0_sel:WORD_1 src1_sel:DWORD
	v_fma_f16 v70, v26, s22, -v70
	v_add_f16_e32 v70, v70, v72
	v_fma_f16 v72, v27, s23, v75
	v_add_f16_e32 v72, v72, v74
	v_mul_f16_sdwa v74, v27, s16 dst_sel:DWORD dst_unused:UNUSED_PAD src0_sel:WORD_1 src1_sel:DWORD
	v_add_f16_e32 v81, v90, v81
	v_fma_f16 v90, v27, s21, v75
	v_fma_f16 v75, v26, s17, v74
	v_add_f16_e32 v75, v75, v79
	v_mul_f16_sdwa v79, v26, s17 dst_sel:DWORD dst_unused:UNUSED_PAD src0_sel:WORD_1 src1_sel:DWORD
	v_fma_f16 v74, v26, s17, -v74
	v_add_f16_e32 v74, v74, v76
	v_fma_f16 v76, v27, s16, v79
	v_add_f16_e32 v76, v76, v78
	v_mul_f16_sdwa v78, v27, s27 dst_sel:DWORD dst_unused:UNUSED_PAD src0_sel:WORD_1 src1_sel:DWORD
	v_add_f16_e32 v85, v90, v85
	v_fma_f16 v90, v27, s18, v79
	v_fma_f16 v79, v26, s28, v78
	v_add_f16_e32 v79, v79, v83
	v_mul_f16_sdwa v83, v26, s28 dst_sel:DWORD dst_unused:UNUSED_PAD src0_sel:WORD_1 src1_sel:DWORD
	v_fma_f16 v78, v26, s28, -v78
	v_add_f16_e32 v78, v78, v80
	v_fma_f16 v80, v27, s27, v83
	v_add_f16_e32 v80, v80, v82
	v_mul_f16_sdwa v82, v27, s14 dst_sel:DWORD dst_unused:UNUSED_PAD src0_sel:WORD_1 src1_sel:DWORD
	v_add_f16_e32 v89, v90, v89
	v_fma_f16 v90, v27, s29, v83
	v_fma_f16 v83, v26, s13, v82
	v_add_f16_e32 v83, v83, v87
	v_mul_f16_sdwa v87, v26, s13 dst_sel:DWORD dst_unused:UNUSED_PAD src0_sel:WORD_1 src1_sel:DWORD
	v_fma_f16 v82, v26, s13, -v82
	v_fma_f16 v91, v27, s12, v87
	v_add_f16_e32 v82, v82, v84
	v_fma_f16 v84, v27, s14, v87
	v_pk_mul_f16 v27, v27, s15 op_sel_hi:[1,0]
	v_add_f16_e32 v84, v84, v86
	v_pk_fma_f16 v86, v26, s19, v27 op_sel:[0,0,1] op_sel_hi:[1,0,0]
	v_pk_fma_f16 v26, v26, s19, v27 op_sel:[0,0,1] op_sel_hi:[1,0,0] neg_lo:[0,0,1] neg_hi:[0,0,1]
	v_add_f16_e32 v97, v100, v97
	v_pk_add_f16 v24, v26, v24
	v_pk_add_f16 v26, v20, v21 neg_lo:[0,1] neg_hi:[0,1]
	v_pk_add_f16 v20, v21, v20
	v_pk_mul_f16 v27, v26, s27 op_sel_hi:[1,0]
	v_pk_add_f16 v22, v22, v23
	v_pk_fma_f16 v25, v20, s28, v27 op_sel:[0,0,1] op_sel_hi:[1,0,0]
	v_pk_fma_f16 v23, v20, s28, v27 op_sel:[0,0,1] op_sel_hi:[1,0,0] neg_lo:[0,0,1] neg_hi:[0,0,1]
	v_add_f16_e32 v97, v99, v97
	v_pk_mul_f16 v21, v20, s28 op_sel_hi:[1,0]
	v_bfi_b32 v23, s30, v25, v23
	v_pack_b32_f16 v25, v30, v73
	v_add_f16_e32 v97, v98, v97
	v_mul_f16_sdwa v87, v26, s18 dst_sel:DWORD dst_unused:UNUSED_PAD src0_sel:WORD_1 src1_sel:DWORD
	v_pk_add_f16 v23, v23, v25
	v_sub_f16_sdwa v25, v21, v27 dst_sel:DWORD dst_unused:UNUSED_PAD src0_sel:DWORD src1_sel:WORD_1
	v_add_f16_e32 v95, v95, v97
	v_pk_add_f16 v86, v86, v88
	v_mul_f16_sdwa v88, v26, s24 dst_sel:DWORD dst_unused:UNUSED_PAD src0_sel:WORD_1 src1_sel:DWORD
	v_pk_add_f16 v22, v22, v36
	v_add_f16_e32 v25, v25, v28
	v_add_f16_sdwa v21, v27, v21 dst_sel:DWORD dst_unused:UNUSED_PAD src0_sel:DWORD src1_sel:WORD_1
	v_fma_f16 v27, v20, s17, v87
	v_mul_f16_sdwa v28, v20, s17 dst_sel:DWORD dst_unused:UNUSED_PAD src0_sel:WORD_1 src1_sel:DWORD
	v_mul_f16_sdwa v36, v20, s25 dst_sel:DWORD dst_unused:UNUSED_PAD src0_sel:WORD_1 src1_sel:DWORD
	v_add_f16_e32 v93, v93, v95
	v_add_f16_e32 v90, v90, v92
	v_mul_f16_sdwa v92, v26, s14 dst_sel:DWORD dst_unused:UNUSED_PAD src0_sel:WORD_1 src1_sel:DWORD
	v_add_f16_e32 v21, v21, v29
	v_add_f16_e32 v27, v27, v38
	v_fma_f16 v29, v26, s16, v28
	v_fma_f16 v30, v20, s17, -v87
	v_fma_f16 v28, v26, s18, v28
	v_fma_f16 v37, v26, s26, v36
	v_fma_f16 v38, v20, s25, -v88
	v_fma_f16 v36, v26, s24, v36
	v_add_f16_e32 v91, v91, v93
	v_mul_f16_sdwa v93, v26, s21 dst_sel:DWORD dst_unused:UNUSED_PAD src0_sel:WORD_1 src1_sel:DWORD
	v_add_f16_e32 v30, v30, v31
	v_add_f16_e32 v28, v28, v39
	v_fma_f16 v31, v20, s25, v88
	v_add_f16_e32 v38, v38, v57
	v_add_f16_e32 v36, v36, v69
	v_fma_f16 v39, v20, s13, v92
	v_mul_f16_sdwa v57, v20, s13 dst_sel:DWORD dst_unused:UNUSED_PAD src0_sel:WORD_1 src1_sel:DWORD
	v_fma_f16 v69, v20, s13, -v92
	v_mul_f16_sdwa v94, v26, s11 dst_sel:DWORD dst_unused:UNUSED_PAD src0_sel:WORD_1 src1_sel:DWORD
	v_add_f16_e32 v31, v31, v68
	v_add_f16_e32 v39, v39, v71
	v_fma_f16 v68, v26, s12, v57
	v_add_f16_e32 v69, v69, v70
	v_fma_f16 v57, v26, s14, v57
	v_fma_f16 v70, v20, s22, v93
	v_mul_f16_sdwa v71, v20, s22 dst_sel:DWORD dst_unused:UNUSED_PAD src0_sel:WORD_1 src1_sel:DWORD
	v_fma_f16 v73, v20, s22, -v93
	v_add_f16_e32 v57, v57, v72
	v_add_f16_e32 v70, v70, v75
	v_fma_f16 v72, v26, s23, v71
	v_add_f16_e32 v73, v73, v74
	v_fma_f16 v71, v26, s21, v71
	v_fma_f16 v74, v20, s10, v94
	v_mul_f16_sdwa v75, v20, s10 dst_sel:DWORD dst_unused:UNUSED_PAD src0_sel:WORD_1 src1_sel:DWORD
	v_mul_f16_sdwa v95, v26, s15 dst_sel:DWORD dst_unused:UNUSED_PAD src0_sel:WORD_1 src1_sel:DWORD
	v_add_f16_e32 v29, v29, v77
	v_add_f16_e32 v37, v37, v81
	;; [unrolled: 1-line block ×4, first 2 shown]
	v_fma_f16 v76, v26, s9, v75
	v_fma_f16 v77, v20, s10, -v94
	v_fma_f16 v75, v26, s11, v75
	v_mul_f16_sdwa v79, v20, s19 dst_sel:DWORD dst_unused:UNUSED_PAD src0_sel:WORD_1 src1_sel:DWORD
	v_pk_mul_f16 v96, v26, s8 op_sel_hi:[1,0]
	s_barrier
	v_add_f16_e32 v68, v68, v85
	v_add_f16_e32 v72, v72, v89
	;; [unrolled: 1-line block ×4, first 2 shown]
	v_fma_f16 v78, v20, s19, v95
	v_fma_f16 v80, v26, s20, v79
	ds_write2_b32 v58, v22, v23 offset1:1
	v_pack_b32_f16 v22, v31, v37
	v_pack_b32_f16 v23, v27, v29
	v_add_f16_e32 v76, v76, v90
	v_add_f16_e32 v78, v78, v83
	;; [unrolled: 1-line block ×3, first 2 shown]
	v_fma_f16 v81, v20, s19, -v95
	v_fma_f16 v26, v26, s15, v79
	v_pk_fma_f16 v79, v20, s1, v96 op_sel:[0,0,1] op_sel_hi:[1,0,0]
	v_pk_fma_f16 v20, v20, s1, v96 op_sel:[0,0,1] op_sel_hi:[1,0,0] neg_lo:[0,0,1] neg_hi:[0,0,1]
	ds_write2_b32 v58, v23, v22 offset0:2 offset1:3
	v_pack_b32_f16 v22, v70, v72
	v_pack_b32_f16 v23, v39, v68
	v_pk_add_f16 v79, v79, v86
	v_pk_add_f16 v20, v20, v24
	ds_write2_b32 v58, v23, v22 offset0:4 offset1:5
	v_pack_b32_f16 v22, v78, v80
	v_pack_b32_f16 v23, v74, v76
	v_add_f16_e32 v81, v81, v82
	v_add_f16_e32 v26, v26, v84
	ds_write2_b32 v58, v23, v22 offset0:6 offset1:7
	v_bfi_b32 v22, s30, v20, v79
	v_bfi_b32 v20, s30, v79, v20
	ds_write2_b32 v58, v20, v22 offset0:8 offset1:9
	v_pack_b32_f16 v20, v77, v75
	v_pack_b32_f16 v22, v81, v26
	ds_write2_b32 v58, v22, v20 offset0:10 offset1:11
	v_pack_b32_f16 v20, v69, v57
	v_pack_b32_f16 v22, v73, v71
	;; [unrolled: 3-line block ×3, first 2 shown]
	ds_write2_b32 v58, v22, v20 offset0:14 offset1:15
	v_pack_b32_f16 v20, v25, v21
	ds_write_b32 v58, v20 offset:64
	s_waitcnt lgkmcnt(0)
	s_barrier
	ds_read2_b32 v[22:23], v19 offset1:34
	ds_read2_b32 v[20:21], v19 offset0:68 offset1:102
	ds_read2_b32 v[24:25], v19 offset0:136 offset1:170
	;; [unrolled: 1-line block ×4, first 2 shown]
	s_waitcnt lgkmcnt(4)
	v_lshrrev_b32_e32 v57, 16, v23
	v_mul_f16_sdwa v83, v0, v57 dst_sel:DWORD dst_unused:UNUSED_PAD src0_sel:WORD_1 src1_sel:DWORD
	s_waitcnt lgkmcnt(3)
	v_lshrrev_b32_e32 v58, 16, v20
	v_fma_f16 v83, v0, v23, v83
	v_mul_f16_sdwa v23, v0, v23 dst_sel:DWORD dst_unused:UNUSED_PAD src0_sel:WORD_1 src1_sel:DWORD
	v_fma_f16 v23, v0, v57, -v23
	v_mul_f16_sdwa v0, v1, v58 dst_sel:DWORD dst_unused:UNUSED_PAD src0_sel:WORD_1 src1_sel:DWORD
	v_lshrrev_b32_e32 v68, 16, v21
	v_fma_f16 v57, v1, v20, v0
	v_mul_f16_sdwa v0, v1, v20 dst_sel:DWORD dst_unused:UNUSED_PAD src0_sel:WORD_1 src1_sel:DWORD
	v_fma_f16 v58, v1, v58, -v0
	v_mul_f16_sdwa v0, v2, v68 dst_sel:DWORD dst_unused:UNUSED_PAD src0_sel:WORD_1 src1_sel:DWORD
	s_waitcnt lgkmcnt(2)
	v_lshrrev_b32_e32 v69, 16, v24
	v_fma_f16 v84, v2, v21, v0
	v_mul_f16_sdwa v0, v2, v21 dst_sel:DWORD dst_unused:UNUSED_PAD src0_sel:WORD_1 src1_sel:DWORD
	v_fma_f16 v21, v2, v68, -v0
	v_mul_f16_sdwa v0, v3, v69 dst_sel:DWORD dst_unused:UNUSED_PAD src0_sel:WORD_1 src1_sel:DWORD
	v_lshrrev_b32_e32 v70, 16, v25
	v_fma_f16 v68, v3, v24, v0
	v_mul_f16_sdwa v0, v3, v24 dst_sel:DWORD dst_unused:UNUSED_PAD src0_sel:WORD_1 src1_sel:DWORD
	v_fma_f16 v24, v3, v69, -v0
	v_mul_f16_sdwa v0, v8, v70 dst_sel:DWORD dst_unused:UNUSED_PAD src0_sel:WORD_1 src1_sel:DWORD
	s_waitcnt lgkmcnt(1)
	v_lshrrev_b32_e32 v71, 16, v26
	v_fma_f16 v69, v8, v25, v0
	v_mul_f16_sdwa v0, v8, v25 dst_sel:DWORD dst_unused:UNUSED_PAD src0_sel:WORD_1 src1_sel:DWORD
	v_fma_f16 v25, v8, v70, -v0
	v_mul_f16_sdwa v0, v9, v71 dst_sel:DWORD dst_unused:UNUSED_PAD src0_sel:WORD_1 src1_sel:DWORD
	v_lshrrev_b32_e32 v72, 16, v27
	v_fma_f16 v70, v9, v26, v0
	v_mul_f16_sdwa v0, v9, v26 dst_sel:DWORD dst_unused:UNUSED_PAD src0_sel:WORD_1 src1_sel:DWORD
	ds_read2_b32 v[30:31], v35 offset0:84 offset1:118
	v_fma_f16 v26, v9, v71, -v0
	v_mul_f16_sdwa v0, v10, v72 dst_sel:DWORD dst_unused:UNUSED_PAD src0_sel:WORD_1 src1_sel:DWORD
	s_waitcnt lgkmcnt(1)
	v_lshrrev_b32_e32 v73, 16, v28
	v_fma_f16 v20, v10, v27, v0
	v_mul_f16_sdwa v0, v10, v27 dst_sel:DWORD dst_unused:UNUSED_PAD src0_sel:WORD_1 src1_sel:DWORD
	v_fma_f16 v10, v10, v72, -v0
	v_mul_f16_sdwa v0, v11, v73 dst_sel:DWORD dst_unused:UNUSED_PAD src0_sel:WORD_1 src1_sel:DWORD
	v_lshrrev_b32_e32 v74, 16, v29
	v_fma_f16 v2, v11, v28, v0
	v_mul_f16_sdwa v0, v11, v28 dst_sel:DWORD dst_unused:UNUSED_PAD src0_sel:WORD_1 src1_sel:DWORD
	ds_read2_b32 v[36:37], v35 offset0:152 offset1:186
	;; [unrolled: 12-line block ×3, first 2 shown]
	v_fma_f16 v12, v13, v75, -v0
	v_mul_f16_sdwa v0, v14, v76 dst_sel:DWORD dst_unused:UNUSED_PAD src0_sel:WORD_1 src1_sel:DWORD
	s_waitcnt lgkmcnt(1)
	v_lshrrev_b32_e32 v78, 16, v36
	v_fma_f16 v13, v14, v31, v0
	v_mul_f16_sdwa v0, v14, v31 dst_sel:DWORD dst_unused:UNUSED_PAD src0_sel:WORD_1 src1_sel:DWORD
	v_fma_f16 v14, v14, v76, -v0
	v_mul_f16_sdwa v0, v15, v78 dst_sel:DWORD dst_unused:UNUSED_PAD src0_sel:WORD_1 src1_sel:DWORD
	v_lshrrev_b32_e32 v79, 16, v37
	v_fma_f16 v27, v15, v36, v0
	v_mul_f16_sdwa v0, v15, v36 dst_sel:DWORD dst_unused:UNUSED_PAD src0_sel:WORD_1 src1_sel:DWORD
	ds_read_b32 v77, v19 offset:2176
	v_fma_f16 v15, v15, v78, -v0
	v_mul_f16_sdwa v0, v4, v79 dst_sel:DWORD dst_unused:UNUSED_PAD src0_sel:WORD_1 src1_sel:DWORD
	s_waitcnt lgkmcnt(1)
	v_lshrrev_b32_e32 v80, 16, v38
	v_fma_f16 v28, v4, v37, v0
	v_mul_f16_sdwa v0, v4, v37 dst_sel:DWORD dst_unused:UNUSED_PAD src0_sel:WORD_1 src1_sel:DWORD
	v_fma_f16 v4, v4, v79, -v0
	v_mul_f16_sdwa v0, v5, v80 dst_sel:DWORD dst_unused:UNUSED_PAD src0_sel:WORD_1 src1_sel:DWORD
	v_lshrrev_b32_e32 v81, 16, v39
	v_fma_f16 v29, v5, v38, v0
	v_mul_f16_sdwa v0, v5, v38 dst_sel:DWORD dst_unused:UNUSED_PAD src0_sel:WORD_1 src1_sel:DWORD
	v_fma_f16 v5, v5, v80, -v0
	v_mul_f16_sdwa v0, v6, v81 dst_sel:DWORD dst_unused:UNUSED_PAD src0_sel:WORD_1 src1_sel:DWORD
	s_waitcnt lgkmcnt(0)
	v_lshrrev_b32_e32 v82, 16, v77
	v_fma_f16 v30, v6, v39, v0
	v_mul_f16_sdwa v0, v6, v39 dst_sel:DWORD dst_unused:UNUSED_PAD src0_sel:WORD_1 src1_sel:DWORD
	v_fma_f16 v6, v6, v81, -v0
	v_mul_f16_sdwa v0, v7, v82 dst_sel:DWORD dst_unused:UNUSED_PAD src0_sel:WORD_1 src1_sel:DWORD
	v_fma_f16 v31, v7, v77, v0
	v_mul_f16_sdwa v0, v7, v77 dst_sel:DWORD dst_unused:UNUSED_PAD src0_sel:WORD_1 src1_sel:DWORD
	v_add_f16_sdwa v1, v22, v23 dst_sel:DWORD dst_unused:UNUSED_PAD src0_sel:WORD_1 src1_sel:DWORD
	v_fma_f16 v7, v7, v82, -v0
	v_add_f16_e32 v0, v22, v83
	v_add_f16_e32 v1, v1, v58
	;; [unrolled: 1-line block ×31, first 2 shown]
	v_sub_f16_e32 v7, v23, v7
	v_add_f16_e32 v0, v0, v31
	v_add_f16_e32 v36, v83, v31
	v_sub_f16_e32 v31, v83, v31
	v_mul_f16_e32 v23, 0xb5c8, v7
	v_mul_f16_e32 v39, 0x3b76, v37
	v_mul_f16_e32 v72, 0xb964, v7
	v_mul_f16_e32 v74, 0x39e9, v37
	v_mul_f16_e32 v76, 0xbb29, v7
	v_mul_f16_e32 v78, 0x3722, v37
	v_mul_f16_e32 v80, 0xbbf7, v7
	v_mul_f16_e32 v82, 0x2de8, v37
	v_mul_f16_e32 v85, 0xbbb2, v7
	v_mul_f16_e32 v87, 0xb461, v37
	v_mul_f16_e32 v89, 0xba62, v7
	v_mul_f16_e32 v91, 0xb8d2, v37
	v_mul_f16_e32 v93, 0xb836, v7
	v_mul_f16_e32 v95, 0xbacd, v37
	v_mul_f16_e32 v7, 0xb1e1, v7
	v_mul_f16_e32 v37, 0xbbdd, v37
	v_fma_f16 v38, v36, s17, v23
	v_fma_f16 v71, v31, s18, v39
	v_fma_f16 v23, v36, s17, -v23
	v_fma_f16 v39, v31, s16, v39
	v_fma_f16 v73, v36, s13, v72
	v_fma_f16 v75, v31, s14, v74
	v_fma_f16 v72, v36, s13, -v72
	v_fma_f16 v74, v31, s12, v74
	;; [unrolled: 4-line block ×8, first 2 shown]
	v_add_f16_e32 v36, v58, v6
	v_sub_f16_e32 v6, v58, v6
	v_add_f16_e32 v38, v22, v38
	v_add_f16_sdwa v71, v22, v71 dst_sel:DWORD dst_unused:UNUSED_PAD src0_sel:WORD_1 src1_sel:DWORD
	v_add_f16_e32 v23, v22, v23
	v_add_f16_sdwa v39, v22, v39 dst_sel:DWORD dst_unused:UNUSED_PAD src0_sel:WORD_1 src1_sel:DWORD
	;; [unrolled: 2-line block ×16, first 2 shown]
	v_add_f16_e32 v31, v57, v30
	v_mul_f16_e32 v37, 0xb964, v6
	v_sub_f16_e32 v30, v57, v30
	v_fma_f16 v57, v31, s13, v37
	v_add_f16_e32 v38, v57, v38
	v_mul_f16_e32 v57, 0x39e9, v36
	v_fma_f16 v37, v31, s13, -v37
	v_add_f16_e32 v23, v37, v23
	v_fma_f16 v37, v30, s12, v57
	v_fma_f16 v58, v30, s14, v57
	v_add_f16_e32 v37, v37, v39
	v_mul_f16_e32 v39, 0xbbf7, v6
	v_add_f16_e32 v58, v58, v71
	v_fma_f16 v57, v31, s1, v39
	v_mul_f16_e32 v71, 0x2de8, v36
	v_fma_f16 v39, v31, s1, -v39
	v_add_f16_e32 v57, v57, v73
	v_fma_f16 v73, v30, s8, v71
	v_add_f16_e32 v39, v39, v72
	v_fma_f16 v71, v30, s0, v71
	v_mul_f16_e32 v72, 0xba62, v6
	v_add_f16_e32 v73, v73, v75
	v_add_f16_e32 v71, v71, v74
	v_fma_f16 v74, v31, s22, v72
	v_mul_f16_e32 v75, 0xb8d2, v36
	v_fma_f16 v72, v31, s22, -v72
	v_add_f16_e32 v74, v74, v77
	v_fma_f16 v77, v30, s23, v75
	v_add_f16_e32 v72, v72, v76
	v_fma_f16 v75, v30, s21, v75
	v_mul_f16_e32 v76, 0xb1e1, v6
	v_add_f16_e32 v77, v77, v79
	;; [unrolled: 10-line block ×5, first 2 shown]
	v_add_f16_e32 v88, v88, v91
	v_fma_f16 v91, v31, s10, v89
	v_mul_f16_e32 v92, 0x3722, v36
	v_fma_f16 v89, v31, s10, -v89
	v_mul_f16_e32 v6, 0x35c8, v6
	v_add_f16_e32 v91, v91, v94
	v_fma_f16 v94, v30, s9, v92
	v_add_f16_e32 v89, v89, v93
	v_fma_f16 v92, v30, s11, v92
	v_fma_f16 v93, v31, s17, v6
	v_mul_f16_e32 v36, 0x3b76, v36
	v_fma_f16 v6, v31, s17, -v6
	v_add_f16_e32 v92, v92, v95
	v_fma_f16 v95, v30, s16, v36
	v_add_f16_e32 v6, v6, v7
	v_fma_f16 v7, v30, s18, v36
	v_add_f16_e32 v30, v21, v5
	v_sub_f16_e32 v5, v21, v5
	v_add_f16_e32 v7, v7, v22
	v_add_f16_e32 v22, v84, v29
	v_mul_f16_e32 v21, 0xbb29, v5
	v_sub_f16_e32 v29, v84, v29
	v_fma_f16 v31, v22, s10, v21
	v_mul_f16_e32 v36, 0x3722, v30
	v_fma_f16 v21, v22, s10, -v21
	v_add_f16_e32 v31, v31, v38
	v_fma_f16 v38, v29, s11, v36
	v_add_f16_e32 v21, v21, v23
	v_fma_f16 v23, v29, s9, v36
	v_mul_f16_e32 v36, 0xba62, v5
	v_add_f16_e32 v23, v23, v37
	v_fma_f16 v37, v22, s22, v36
	v_add_f16_e32 v37, v37, v57
	v_mul_f16_e32 v57, 0xb8d2, v30
	v_fma_f16 v36, v22, s22, -v36
	v_add_f16_e32 v38, v38, v58
	v_fma_f16 v58, v29, s23, v57
	v_add_f16_e32 v36, v36, v39
	v_fma_f16 v39, v29, s21, v57
	v_mul_f16_e32 v57, 0x31e1, v5
	v_add_f16_e32 v58, v58, v73
	v_add_f16_e32 v39, v39, v71
	v_fma_f16 v71, v22, s28, v57
	v_mul_f16_e32 v73, 0xbbdd, v30
	v_fma_f16 v57, v22, s28, -v57
	v_add_f16_e32 v71, v71, v74
	v_fma_f16 v74, v29, s27, v73
	v_add_f16_e32 v57, v57, v72
	v_fma_f16 v72, v29, s29, v73
	v_mul_f16_e32 v73, 0x3bb2, v5
	v_add_f16_e32 v74, v74, v77
	v_add_f16_e32 v72, v72, v75
	v_fma_f16 v75, v22, s19, v73
	;; [unrolled: 10-line block ×3, first 2 shown]
	v_mul_f16_e32 v81, 0x39e9, v30
	v_fma_f16 v77, v22, s13, -v77
	v_add_f16_e32 v79, v79, v82
	v_fma_f16 v82, v29, s12, v81
	v_add_f16_e32 v77, v77, v80
	v_fma_f16 v80, v29, s14, v81
	v_mul_f16_e32 v81, 0xb5c8, v5
	v_add_f16_e32 v80, v80, v83
	v_fma_f16 v83, v22, s17, v81
	v_fma_f16 v81, v22, s17, -v81
	v_mul_f16_e32 v84, 0x3b76, v30
	v_add_f16_e32 v81, v81, v85
	v_mul_f16_e32 v85, 0xbbf7, v5
	v_add_f16_e32 v82, v82, v86
	v_add_f16_e32 v83, v83, v87
	v_fma_f16 v86, v29, s18, v84
	v_fma_f16 v84, v29, s16, v84
	;; [unrolled: 1-line block ×3, first 2 shown]
	v_fma_f16 v85, v22, s1, -v85
	v_mul_f16_e32 v5, 0xb836, v5
	v_add_f16_e32 v84, v84, v88
	v_mul_f16_e32 v88, 0x2de8, v30
	v_add_f16_e32 v85, v85, v89
	v_fma_f16 v89, v22, s25, v5
	v_mul_f16_e32 v30, 0xbacd, v30
	v_fma_f16 v5, v22, s25, -v5
	v_add_f16_e32 v5, v5, v6
	v_fma_f16 v6, v29, s24, v30
	v_add_f16_e32 v22, v24, v4
	v_sub_f16_e32 v4, v24, v4
	v_add_f16_e32 v6, v6, v7
	v_add_f16_e32 v7, v68, v28
	v_mul_f16_e32 v24, 0xbbf7, v4
	v_add_f16_e32 v86, v86, v90
	v_add_f16_e32 v87, v87, v91
	v_fma_f16 v90, v29, s8, v88
	v_fma_f16 v88, v29, s0, v88
	;; [unrolled: 1-line block ×3, first 2 shown]
	v_sub_f16_e32 v28, v68, v28
	v_fma_f16 v29, v7, s1, v24
	v_mul_f16_e32 v30, 0x2de8, v22
	v_fma_f16 v24, v7, s1, -v24
	v_add_f16_e32 v21, v24, v21
	v_fma_f16 v24, v28, s0, v30
	v_add_f16_e32 v23, v24, v23
	v_mul_f16_e32 v24, 0xb1e1, v4
	v_add_f16_e32 v29, v29, v31
	v_fma_f16 v31, v28, s8, v30
	v_fma_f16 v30, v7, s28, v24
	v_add_f16_e32 v30, v30, v37
	v_mul_f16_e32 v37, 0xbbdd, v22
	v_fma_f16 v24, v7, s28, -v24
	v_add_f16_e32 v31, v31, v38
	v_fma_f16 v38, v28, s29, v37
	v_add_f16_e32 v24, v24, v36
	v_fma_f16 v36, v28, s27, v37
	v_mul_f16_e32 v37, 0x3bb2, v4
	v_add_f16_e32 v38, v38, v58
	v_add_f16_e32 v36, v36, v39
	v_fma_f16 v39, v7, s19, v37
	v_mul_f16_e32 v58, 0xb461, v22
	v_fma_f16 v37, v7, s19, -v37
	v_fma_f16 v68, v28, s15, v58
	v_add_f16_e32 v37, v37, v57
	v_fma_f16 v57, v28, s20, v58
	v_mul_f16_e32 v58, 0x35c8, v4
	v_add_f16_e32 v39, v39, v71
	v_fma_f16 v71, v7, s17, v58
	v_fma_f16 v58, v7, s17, -v58
	v_add_f16_e32 v57, v57, v72
	v_mul_f16_e32 v72, 0x3b76, v22
	v_add_f16_e32 v58, v58, v73
	v_mul_f16_e32 v73, 0xbb29, v4
	v_add_f16_e32 v68, v68, v74
	v_add_f16_e32 v71, v71, v75
	v_fma_f16 v74, v28, s16, v72
	v_fma_f16 v72, v28, s18, v72
	v_fma_f16 v75, v7, s10, v73
	v_fma_f16 v73, v7, s10, -v73
	v_add_f16_e32 v72, v72, v76
	v_mul_f16_e32 v76, 0x3722, v22
	v_add_f16_e32 v73, v73, v77
	v_mul_f16_e32 v77, 0xb836, v4
	v_add_f16_e32 v74, v74, v78
	v_add_f16_e32 v75, v75, v79
	v_fma_f16 v78, v28, s11, v76
	v_fma_f16 v76, v28, s9, v76
	;; [unrolled: 10-line block ×3, first 2 shown]
	v_fma_f16 v83, v7, s22, v81
	v_fma_f16 v81, v7, s22, -v81
	v_mul_f16_e32 v4, 0x3964, v4
	v_add_f16_e32 v80, v80, v84
	v_mul_f16_e32 v84, 0xb8d2, v22
	v_add_f16_e32 v81, v81, v85
	v_fma_f16 v85, v7, s13, v4
	v_mul_f16_e32 v22, 0x39e9, v22
	v_fma_f16 v4, v7, s13, -v4
	v_add_f16_e32 v4, v4, v5
	v_fma_f16 v5, v28, s14, v22
	v_add_f16_e32 v7, v25, v15
	v_sub_f16_e32 v15, v25, v15
	v_add_f16_e32 v5, v5, v6
	v_add_f16_e32 v6, v69, v27
	v_mul_f16_e32 v25, 0xbbb2, v15
	v_add_f16_e32 v82, v82, v86
	v_add_f16_e32 v83, v83, v87
	v_fma_f16 v86, v28, s21, v84
	v_fma_f16 v84, v28, s23, v84
	;; [unrolled: 1-line block ×3, first 2 shown]
	v_sub_f16_e32 v22, v69, v27
	v_fma_f16 v27, v6, s19, v25
	v_mul_f16_e32 v28, 0xb461, v7
	v_fma_f16 v25, v6, s19, -v25
	v_add_f16_e32 v21, v25, v21
	v_fma_f16 v25, v22, s15, v28
	v_add_f16_e32 v23, v25, v23
	v_mul_f16_e32 v25, 0x3836, v15
	v_add_f16_e32 v27, v27, v29
	v_fma_f16 v29, v22, s20, v28
	v_fma_f16 v28, v6, s25, v25
	v_add_f16_e32 v28, v28, v30
	v_mul_f16_e32 v30, 0xbacd, v7
	v_fma_f16 v25, v6, s25, -v25
	v_add_f16_e32 v29, v29, v31
	v_fma_f16 v31, v22, s24, v30
	v_add_f16_e32 v24, v25, v24
	v_fma_f16 v25, v22, s26, v30
	v_mul_f16_e32 v30, 0x3964, v15
	v_add_f16_e32 v31, v31, v38
	v_add_f16_e32 v25, v25, v36
	v_fma_f16 v36, v6, s13, v30
	v_mul_f16_e32 v38, 0x39e9, v7
	v_fma_f16 v30, v6, s13, -v30
	v_add_f16_e32 v36, v36, v39
	v_fma_f16 v39, v22, s12, v38
	v_add_f16_e32 v30, v30, v37
	v_fma_f16 v37, v22, s14, v38
	v_mul_f16_e32 v38, 0xbb29, v15
	v_add_f16_e32 v39, v39, v68
	v_add_f16_e32 v37, v37, v57
	v_fma_f16 v57, v6, s10, v38
	v_mul_f16_e32 v68, 0x3722, v7
	v_fma_f16 v38, v6, s10, -v38
	v_fma_f16 v69, v22, s11, v68
	v_add_f16_e32 v38, v38, v58
	v_fma_f16 v58, v22, s9, v68
	v_mul_f16_e32 v68, 0xb1e1, v15
	v_add_f16_e32 v57, v57, v71
	v_fma_f16 v71, v6, s28, v68
	v_fma_f16 v68, v6, s28, -v68
	v_add_f16_e32 v58, v58, v72
	v_mul_f16_e32 v72, 0xbbdd, v7
	v_add_f16_e32 v68, v68, v73
	v_mul_f16_e32 v73, 0x3bf7, v15
	v_add_f16_e32 v69, v69, v74
	v_add_f16_e32 v71, v71, v75
	v_fma_f16 v74, v22, s29, v72
	v_fma_f16 v72, v22, s27, v72
	;; [unrolled: 1-line block ×3, first 2 shown]
	v_fma_f16 v73, v6, s1, -v73
	v_add_f16_e32 v72, v72, v76
	v_mul_f16_e32 v76, 0x2de8, v7
	v_add_f16_e32 v73, v73, v77
	v_mul_f16_e32 v77, 0xb5c8, v15
	v_add_f16_e32 v74, v74, v78
	v_add_f16_e32 v75, v75, v79
	v_fma_f16 v78, v22, s0, v76
	v_fma_f16 v76, v22, s8, v76
	;; [unrolled: 1-line block ×3, first 2 shown]
	v_fma_f16 v77, v6, s17, -v77
	v_mul_f16_e32 v15, 0xba62, v15
	v_add_f16_e32 v76, v76, v80
	v_mul_f16_e32 v80, 0x3b76, v7
	v_add_f16_e32 v77, v77, v81
	v_fma_f16 v81, v6, s22, v15
	v_mul_f16_e32 v7, 0xb8d2, v7
	v_fma_f16 v6, v6, s22, -v15
	v_add_f16_e32 v79, v79, v83
	v_fma_f16 v83, v22, s23, v7
	v_add_f16_e32 v4, v6, v4
	v_fma_f16 v6, v22, s21, v7
	v_add_f16_e32 v7, v26, v14
	v_sub_f16_e32 v14, v26, v14
	v_add_f16_e32 v5, v6, v5
	v_add_f16_e32 v6, v70, v13
	v_mul_f16_e32 v15, 0xba62, v14
	v_add_f16_e32 v78, v78, v82
	v_fma_f16 v82, v22, s18, v80
	v_fma_f16 v80, v22, s16, v80
	v_sub_f16_e32 v13, v70, v13
	v_fma_f16 v22, v6, s22, v15
	v_mul_f16_e32 v26, 0xb8d2, v7
	v_fma_f16 v15, v6, s22, -v15
	v_add_f16_e32 v15, v15, v21
	v_fma_f16 v21, v13, s21, v26
	v_add_f16_e32 v21, v21, v23
	v_mul_f16_e32 v23, 0x3bb2, v14
	v_add_f16_e32 v22, v22, v27
	v_fma_f16 v27, v13, s23, v26
	v_fma_f16 v26, v6, s19, v23
	v_add_f16_e32 v26, v26, v28
	v_mul_f16_e32 v28, 0xb461, v7
	v_fma_f16 v23, v6, s19, -v23
	v_add_f16_e32 v23, v23, v24
	v_fma_f16 v24, v13, s20, v28
	v_add_f16_e32 v27, v27, v29
	v_fma_f16 v29, v13, s15, v28
	v_add_f16_e32 v24, v24, v25
	v_mul_f16_e32 v25, 0xb5c8, v14
	v_add_f16_e32 v29, v29, v31
	v_fma_f16 v28, v6, s17, v25
	v_mul_f16_e32 v31, 0x3b76, v7
	v_fma_f16 v25, v6, s17, -v25
	v_add_f16_e32 v28, v28, v36
	v_fma_f16 v36, v13, s18, v31
	v_add_f16_e32 v25, v25, v30
	v_fma_f16 v30, v13, s16, v31
	v_mul_f16_e32 v31, 0xb836, v14
	v_add_f16_e32 v36, v36, v39
	v_add_f16_e32 v30, v30, v37
	v_fma_f16 v37, v6, s25, v31
	v_mul_f16_e32 v39, 0xbacd, v7
	v_fma_f16 v31, v6, s25, -v31
	v_add_f16_e32 v37, v37, v57
	v_fma_f16 v57, v13, s26, v39
	v_add_f16_e32 v31, v31, v38
	v_fma_f16 v38, v13, s24, v39
	v_mul_f16_e32 v39, 0x3bf7, v14
	v_add_f16_e32 v57, v57, v69
	v_add_f16_e32 v38, v38, v58
	v_fma_f16 v58, v6, s1, v39
	v_mul_f16_e32 v69, 0x2de8, v7
	v_fma_f16 v39, v6, s1, -v39
	v_fma_f16 v70, v13, s0, v69
	v_add_f16_e32 v39, v39, v68
	v_fma_f16 v68, v13, s8, v69
	v_mul_f16_e32 v69, 0xb964, v14
	v_add_f16_e32 v58, v58, v71
	v_fma_f16 v71, v6, s13, v69
	v_fma_f16 v69, v6, s13, -v69
	v_add_f16_e32 v68, v68, v72
	v_mul_f16_e32 v72, 0x39e9, v7
	v_add_f16_e32 v69, v69, v73
	v_mul_f16_e32 v73, 0xb1e1, v14
	v_add_f16_e32 v70, v70, v74
	v_add_f16_e32 v71, v71, v75
	v_fma_f16 v74, v13, s14, v72
	v_fma_f16 v72, v13, s12, v72
	v_fma_f16 v75, v6, s28, v73
	v_fma_f16 v73, v6, s28, -v73
	v_mul_f16_e32 v14, 0x3b29, v14
	v_add_f16_e32 v72, v72, v76
	v_mul_f16_e32 v76, 0xbbdd, v7
	v_add_f16_e32 v73, v73, v77
	v_fma_f16 v77, v6, s10, v14
	v_mul_f16_e32 v7, 0x3722, v7
	v_fma_f16 v6, v6, s10, -v14
	v_add_f16_e32 v75, v75, v79
	v_fma_f16 v79, v13, s9, v7
	v_add_f16_e32 v4, v6, v4
	v_fma_f16 v6, v13, s11, v7
	v_add_f16_e32 v7, v10, v12
	v_sub_f16_e32 v10, v10, v12
	v_add_f16_e32 v5, v6, v5
	v_add_f16_e32 v6, v20, v11
	v_mul_f16_e32 v12, 0xb836, v10
	v_add_f16_e32 v74, v74, v78
	v_fma_f16 v78, v13, s29, v76
	v_fma_f16 v76, v13, s27, v76
	v_sub_f16_e32 v11, v20, v11
	v_fma_f16 v13, v6, s25, v12
	v_mul_f16_e32 v14, 0xbacd, v7
	v_fma_f16 v12, v6, s25, -v12
	v_fma_f16 v20, v11, s26, v14
	v_add_f16_e32 v12, v12, v15
	v_fma_f16 v14, v11, s24, v14
	v_mul_f16_e32 v15, 0x3b29, v10
	v_add_f16_e32 v14, v14, v21
	v_fma_f16 v21, v6, s10, v15
	v_add_f16_e32 v13, v13, v22
	v_add_f16_e32 v22, v21, v26
	v_mul_f16_e32 v21, 0x3722, v7
	v_fma_f16 v26, v11, s9, v21
	v_fma_f16 v15, v6, s10, -v15
	v_fma_f16 v21, v11, s11, v21
	v_add_f16_e32 v15, v15, v23
	v_add_f16_e32 v23, v21, v24
	v_mul_f16_e32 v21, 0xbbf7, v10
	v_add_f16_e32 v20, v20, v27
	v_fma_f16 v24, v6, s1, v21
	v_mul_f16_e32 v27, 0x2de8, v7
	v_fma_f16 v21, v6, s1, -v21
	v_add_f16_e32 v25, v21, v25
	v_fma_f16 v21, v11, s0, v27
	v_add_f16_e32 v24, v24, v28
	v_fma_f16 v28, v11, s8, v27
	v_add_f16_e32 v27, v21, v30
	v_mul_f16_e32 v21, 0x3a62, v10
	v_add_f16_e32 v26, v26, v29
	v_fma_f16 v29, v6, s22, v21
	v_mul_f16_e32 v30, 0xb8d2, v7
	v_fma_f16 v21, v6, s22, -v21
	v_add_f16_e32 v31, v21, v31
	v_fma_f16 v21, v11, s23, v30
	v_add_f16_e32 v28, v28, v36
	v_fma_f16 v36, v11, s21, v30
	;; [unrolled: 10-line block ×3, first 2 shown]
	v_add_f16_e32 v38, v21, v68
	v_mul_f16_e32 v21, 0xb1e1, v10
	v_add_f16_e32 v37, v37, v58
	v_fma_f16 v58, v6, s28, v21
	v_mul_f16_e32 v68, 0xbbdd, v7
	v_fma_f16 v21, v6, s28, -v21
	v_add_f16_e32 v93, v93, v97
	v_add_f16_e32 v88, v88, v92
	;; [unrolled: 1-line block ×3, first 2 shown]
	v_fma_f16 v21, v11, s27, v68
	v_add_f16_e32 v89, v89, v93
	v_add_f16_e32 v84, v84, v88
	;; [unrolled: 1-line block ×3, first 2 shown]
	v_fma_f16 v70, v11, s29, v68
	v_add_f16_e32 v68, v21, v72
	v_mul_f16_e32 v21, 0x3964, v10
	v_add_f16_e32 v85, v85, v89
	v_add_f16_e32 v80, v80, v84
	;; [unrolled: 1-line block ×3, first 2 shown]
	v_fma_f16 v71, v6, s13, v21
	v_mul_f16_e32 v72, 0x39e9, v7
	v_fma_f16 v21, v6, s13, -v21
	v_add_f16_e32 v81, v81, v85
	v_add_f16_e32 v76, v76, v80
	;; [unrolled: 1-line block ×3, first 2 shown]
	v_fma_f16 v21, v11, s14, v72
	v_mul_f16_e32 v10, 0xbbb2, v10
	v_add_f16_e32 v95, v95, v98
	v_add_f16_e32 v77, v77, v81
	;; [unrolled: 1-line block ×3, first 2 shown]
	v_fma_f16 v74, v11, s12, v72
	v_add_f16_e32 v72, v21, v76
	v_fma_f16 v21, v6, s19, v10
	v_mul_f16_e32 v7, 0xb461, v7
	v_fma_f16 v6, v6, s19, -v10
	v_add_f16_e32 v91, v91, v95
	v_add_f16_e32 v71, v71, v75
	;; [unrolled: 1-line block ×3, first 2 shown]
	v_fma_f16 v21, v11, s20, v7
	v_add_f16_e32 v4, v6, v4
	v_fma_f16 v6, v11, s15, v7
	v_add_f16_e32 v7, v3, v9
	v_sub_f16_e32 v3, v3, v9
	v_add_f16_e32 v87, v87, v91
	v_add_f16_e32 v5, v6, v5
	;; [unrolled: 1-line block ×3, first 2 shown]
	v_sub_f16_e32 v2, v2, v8
	v_mul_f16_e32 v8, 0xb1e1, v3
	v_mul_f16_e32 v10, 0xbbdd, v7
	v_add_f16_e32 v83, v83, v87
	v_fma_f16 v9, v6, s28, v8
	v_fma_f16 v11, v2, s29, v10
	v_fma_f16 v8, v6, s28, -v8
	v_add_f16_e32 v79, v79, v83
	v_add_f16_e32 v11, v11, v20
	;; [unrolled: 1-line block ×3, first 2 shown]
	v_fma_f16 v8, v2, s27, v10
	v_add_f16_e32 v76, v21, v79
	v_add_f16_e32 v21, v8, v14
	v_mul_f16_e32 v8, 0x35c8, v3
	v_fma_f16 v10, v6, s17, v8
	v_mul_f16_e32 v12, 0x3b76, v7
	v_add_f16_e32 v9, v9, v13
	v_add_f16_e32 v10, v10, v22
	v_fma_f16 v13, v2, s16, v12
	v_fma_f16 v8, v6, s17, -v8
	v_fma_f16 v12, v2, s18, v12
	v_mul_f16_e32 v14, 0xb836, v3
	v_mul_f16_e32 v22, 0xbacd, v7
	v_add_f16_e32 v13, v13, v26
	v_add_f16_e32 v8, v8, v15
	;; [unrolled: 1-line block ×3, first 2 shown]
	v_fma_f16 v15, v6, s25, v14
	v_fma_f16 v23, v2, s26, v22
	;; [unrolled: 1-line block ×3, first 2 shown]
	v_mul_f16_e32 v26, 0x39e9, v7
	v_add_f16_e32 v15, v15, v24
	v_fma_f16 v14, v6, s25, -v14
	v_add_f16_e32 v22, v22, v27
	v_mul_f16_e32 v24, 0x3964, v3
	v_fma_f16 v27, v2, s12, v26
	v_fma_f16 v26, v2, s14, v26
	v_add_f16_e32 v94, v94, v96
	v_add_f16_e32 v14, v14, v25
	v_fma_f16 v25, v6, s13, v24
	v_fma_f16 v24, v6, s13, -v24
	v_add_f16_e32 v26, v26, v30
	v_mul_f16_e32 v30, 0xb8d2, v7
	v_add_f16_e32 v90, v90, v94
	v_add_f16_e32 v23, v23, v28
	;; [unrolled: 1-line block ×3, first 2 shown]
	v_mul_f16_e32 v28, 0xba62, v3
	v_fma_f16 v31, v2, s23, v30
	v_fma_f16 v30, v2, s21, v30
	v_add_f16_e32 v86, v86, v90
	v_add_f16_e32 v25, v25, v29
	v_fma_f16 v29, v6, s22, v28
	v_fma_f16 v28, v6, s22, -v28
	v_add_f16_e32 v30, v30, v38
	v_mul_f16_e32 v38, 0x3722, v7
	v_add_f16_e32 v82, v82, v86
	v_add_f16_e32 v27, v27, v36
	;; [unrolled: 1-line block ×3, first 2 shown]
	v_mul_f16_e32 v36, 0x3b29, v3
	v_fma_f16 v39, v2, s9, v38
	v_fma_f16 v38, v2, s11, v38
	v_add_f16_e32 v78, v78, v82
	v_add_f16_e32 v29, v29, v37
	;; [unrolled: 1-line block ×3, first 2 shown]
	v_fma_f16 v37, v6, s10, v36
	v_fma_f16 v36, v6, s10, -v36
	v_add_f16_e32 v38, v38, v68
	v_mul_f16_e32 v57, 0xbbb2, v3
	v_mul_f16_e32 v68, 0xb461, v7
	v_pack_b32_f16 v0, v0, v1
	v_pack_b32_f16 v1, v9, v11
	v_add_f16_e32 v74, v74, v78
	v_add_f16_e32 v37, v37, v58
	;; [unrolled: 1-line block ×3, first 2 shown]
	v_fma_f16 v58, v6, s19, v57
	v_fma_f16 v69, v2, s20, v68
	v_mul_f16_e32 v3, 0x3bf7, v3
	v_mul_f16_e32 v7, 0x2de8, v7
	s_barrier
	ds_write2_b32 v59, v0, v1 offset1:17
	v_pack_b32_f16 v0, v10, v13
	v_pack_b32_f16 v1, v15, v23
	v_add_f16_e32 v39, v39, v70
	v_add_f16_e32 v58, v58, v71
	;; [unrolled: 1-line block ×3, first 2 shown]
	v_fma_f16 v68, v2, s15, v68
	v_fma_f16 v70, v6, s1, v3
	;; [unrolled: 1-line block ×3, first 2 shown]
	v_fma_f16 v3, v6, s1, -v3
	v_fma_f16 v2, v2, s8, v7
	ds_write2_b32 v59, v0, v1 offset0:34 offset1:51
	v_pack_b32_f16 v0, v25, v27
	v_pack_b32_f16 v1, v29, v31
	v_fma_f16 v57, v6, s19, -v57
	v_add_f16_e32 v70, v70, v75
	v_add_f16_e32 v71, v71, v76
	;; [unrolled: 1-line block ×4, first 2 shown]
	ds_write2_b32 v59, v0, v1 offset0:68 offset1:85
	v_pack_b32_f16 v0, v37, v39
	v_pack_b32_f16 v1, v58, v69
	v_add_f16_e32 v57, v57, v73
	v_add_f16_e32 v68, v68, v72
	ds_write2_b32 v59, v0, v1 offset0:102 offset1:119
	v_pack_b32_f16 v0, v70, v71
	v_pack_b32_f16 v1, v3, v2
	ds_write2_b32 v59, v0, v1 offset0:136 offset1:153
	v_pack_b32_f16 v0, v57, v68
	v_pack_b32_f16 v1, v36, v38
	ds_write2_b32 v59, v0, v1 offset0:170 offset1:187
	v_pack_b32_f16 v0, v28, v30
	v_pack_b32_f16 v1, v24, v26
	ds_write2_b32 v59, v0, v1 offset0:204 offset1:221
	v_pack_b32_f16 v0, v14, v22
	v_pack_b32_f16 v1, v8, v12
	ds_write2_b32 v59, v0, v1 offset0:238 offset1:255
	v_pack_b32_f16 v0, v20, v21
	ds_write_b32 v59, v0 offset:1088
	s_waitcnt lgkmcnt(0)
	s_barrier
	ds_read2_b32 v[6:7], v19 offset1:34
	ds_read2_b32 v[14:15], v35 offset0:33 offset1:67
	ds_read2_b32 v[4:5], v19 offset0:68 offset1:102
	;; [unrolled: 1-line block ×6, first 2 shown]
	v_add_u32_e32 v8, 0x600, v19
	ds_read2_b32 v[8:9], v8 offset0:109 offset1:143
	v_add_u32_e32 v23, 0x330, v19
	v_add_u32_e32 v22, 0x3b8, v19
	s_and_saveexec_b64 s[0:1], vcc
	s_cbranch_execz .LBB0_7
; %bb.6:
	ds_read_b32 v20, v19 offset:1088
	ds_read_b32 v33, v19 offset:2244
	s_waitcnt lgkmcnt(1)
	v_lshrrev_b32_e32 v21, 16, v20
	s_waitcnt lgkmcnt(0)
	v_lshrrev_b32_e32 v34, 16, v33
.LBB0_7:
	s_or_b64 exec, exec, s[0:1]
	s_waitcnt lgkmcnt(6)
	v_lshrrev_b32_e32 v25, 16, v14
	v_mul_f16_sdwa v68, v60, v25 dst_sel:DWORD dst_unused:UNUSED_PAD src0_sel:WORD_1 src1_sel:DWORD
	v_lshrrev_b32_e32 v27, 16, v15
	v_fma_f16 v68, v60, v14, v68
	v_mul_f16_sdwa v14, v60, v14 dst_sel:DWORD dst_unused:UNUSED_PAD src0_sel:WORD_1 src1_sel:DWORD
	v_fma_f16 v14, v60, v25, -v14
	v_mul_f16_sdwa v25, v61, v27 dst_sel:DWORD dst_unused:UNUSED_PAD src0_sel:WORD_1 src1_sel:DWORD
	s_waitcnt lgkmcnt(4)
	v_lshrrev_b32_e32 v29, 16, v12
	v_fma_f16 v25, v61, v15, v25
	v_mul_f16_sdwa v15, v61, v15 dst_sel:DWORD dst_unused:UNUSED_PAD src0_sel:WORD_1 src1_sel:DWORD
	v_fma_f16 v15, v61, v27, -v15
	v_mul_f16_sdwa v27, v62, v29 dst_sel:DWORD dst_unused:UNUSED_PAD src0_sel:WORD_1 src1_sel:DWORD
	v_lshrrev_b32_e32 v31, 16, v13
	v_fma_f16 v27, v62, v12, v27
	v_mul_f16_sdwa v12, v62, v12 dst_sel:DWORD dst_unused:UNUSED_PAD src0_sel:WORD_1 src1_sel:DWORD
	v_fma_f16 v12, v62, v29, -v12
	v_mul_f16_sdwa v29, v63, v31 dst_sel:DWORD dst_unused:UNUSED_PAD src0_sel:WORD_1 src1_sel:DWORD
	s_waitcnt lgkmcnt(2)
	v_lshrrev_b32_e32 v36, 16, v10
	v_fma_f16 v29, v63, v13, v29
	v_mul_f16_sdwa v13, v63, v13 dst_sel:DWORD dst_unused:UNUSED_PAD src0_sel:WORD_1 src1_sel:DWORD
	v_fma_f16 v13, v63, v31, -v13
	;; [unrolled: 11-line block ×3, first 2 shown]
	v_mul_f16_sdwa v38, v66, v57 dst_sel:DWORD dst_unused:UNUSED_PAD src0_sel:WORD_1 src1_sel:DWORD
	v_lshrrev_b32_e32 v59, 16, v9
	v_fma_f16 v38, v66, v8, v38
	v_mul_f16_sdwa v8, v66, v8 dst_sel:DWORD dst_unused:UNUSED_PAD src0_sel:WORD_1 src1_sel:DWORD
	v_fma_f16 v8, v66, v57, -v8
	v_mul_f16_sdwa v57, v67, v59 dst_sel:DWORD dst_unused:UNUSED_PAD src0_sel:WORD_1 src1_sel:DWORD
	v_lshrrev_b32_e32 v24, 16, v6
	v_fma_f16 v57, v67, v9, v57
	v_mul_f16_sdwa v9, v67, v9 dst_sel:DWORD dst_unused:UNUSED_PAD src0_sel:WORD_1 src1_sel:DWORD
	v_fma_f16 v9, v67, v59, -v9
	v_sub_f16_e32 v59, v6, v68
	v_sub_f16_e32 v14, v24, v14
	v_lshrrev_b32_e32 v26, 16, v7
	v_fma_f16 v6, v6, 2.0, -v59
	v_fma_f16 v24, v24, 2.0, -v14
	v_lshrrev_b32_e32 v28, 16, v4
	v_sub_f16_e32 v25, v7, v25
	v_sub_f16_e32 v15, v26, v15
	v_pack_b32_f16 v6, v6, v24
	v_fma_f16 v7, v7, 2.0, -v25
	v_fma_f16 v26, v26, 2.0, -v15
	v_sub_f16_e32 v27, v4, v27
	v_sub_f16_e32 v12, v28, v12
	ds_write_b32 v19, v6
	v_pack_b32_f16 v6, v59, v14
	v_lshrrev_b32_e32 v30, 16, v5
	v_fma_f16 v4, v4, 2.0, -v27
	v_fma_f16 v28, v28, 2.0, -v12
	ds_write_b32 v32, v6 offset:1156
	v_pack_b32_f16 v6, v7, v26
	v_lshrrev_b32_e32 v35, 16, v2
	v_sub_f16_e32 v29, v5, v29
	v_sub_f16_e32 v13, v30, v13
	ds_write_b32 v19, v6 offset:136
	v_pack_b32_f16 v6, v25, v15
	v_pack_b32_f16 v4, v4, v28
	v_fma_f16 v5, v5, 2.0, -v29
	v_fma_f16 v30, v30, 2.0, -v13
	v_sub_f16_e32 v31, v2, v31
	v_sub_f16_e32 v10, v35, v10
	ds_write_b32 v32, v6 offset:1292
	ds_write_b32 v19, v4 offset:272
	v_pack_b32_f16 v4, v27, v12
	v_lshrrev_b32_e32 v37, 16, v3
	v_fma_f16 v2, v2, 2.0, -v31
	v_fma_f16 v35, v35, 2.0, -v10
	ds_write_b32 v32, v4 offset:1428
	v_pack_b32_f16 v4, v5, v30
	v_lshrrev_b32_e32 v39, 16, v0
	v_lshrrev_b32_e32 v58, 16, v1
	v_sub_f16_e32 v36, v3, v36
	v_sub_f16_e32 v11, v37, v11
	ds_write_b32 v19, v4 offset:408
	v_pack_b32_f16 v4, v29, v13
	v_pack_b32_f16 v2, v2, v35
	v_fma_f16 v3, v3, 2.0, -v36
	v_fma_f16 v37, v37, 2.0, -v11
	v_sub_f16_e32 v38, v0, v38
	v_sub_f16_e32 v8, v39, v8
	;; [unrolled: 1-line block ×4, first 2 shown]
	ds_write_b32 v32, v4 offset:1564
	ds_write_b32 v19, v2 offset:544
	v_pack_b32_f16 v2, v31, v10
	v_fma_f16 v0, v0, 2.0, -v38
	v_fma_f16 v39, v39, 2.0, -v8
	;; [unrolled: 1-line block ×4, first 2 shown]
	ds_write_b32 v32, v2 offset:1700
	v_pack_b32_f16 v2, v3, v37
	ds_write_b32 v19, v2 offset:680
	v_pack_b32_f16 v2, v36, v11
	v_pack_b32_f16 v0, v0, v39
	;; [unrolled: 1-line block ×3, first 2 shown]
	ds_write_b32 v32, v2 offset:1836
	v_pack_b32_f16 v2, v38, v8
	ds_write2_b32 v19, v0, v1 offset0:204 offset1:238
	v_pack_b32_f16 v0, v57, v9
	ds_write_b32 v23, v2 offset:1156
	ds_write_b32 v22, v0 offset:1156
	s_and_saveexec_b64 s[0:1], vcc
	s_cbranch_execz .LBB0_9
; %bb.8:
	v_mul_f16_sdwa v0, v17, v34 dst_sel:DWORD dst_unused:UNUSED_PAD src0_sel:WORD_1 src1_sel:DWORD
	v_mul_f16_sdwa v2, v17, v33 dst_sel:DWORD dst_unused:UNUSED_PAD src0_sel:WORD_1 src1_sel:DWORD
	v_fma_f16 v0, v17, v33, v0
	v_fma_f16 v2, v17, v34, -v2
	v_sub_f16_e32 v0, v20, v0
	v_sub_f16_e32 v2, v21, v2
	v_fma_f16 v1, v20, 2.0, -v0
	v_fma_f16 v3, v21, 2.0, -v2
	v_pack_b32_f16 v1, v1, v3
	v_pack_b32_f16 v0, v0, v2
	ds_write_b32 v19, v1 offset:1088
	ds_write_b32 v32, v0 offset:2244
.LBB0_9:
	s_or_b64 exec, exec, s[0:1]
	s_waitcnt lgkmcnt(0)
	s_barrier
	ds_read2_b32 v[4:5], v19 offset1:34
	v_mad_u64_u32 v[6:7], s[0:1], s6, v18, 0
	v_mov_b32_e32 v0, v7
	v_mov_b32_e32 v2, s2
	s_waitcnt lgkmcnt(0)
	v_lshrrev_b32_e32 v8, 16, v4
	v_mul_f16_sdwa v1, v56, v8 dst_sel:DWORD dst_unused:UNUSED_PAD src0_sel:WORD_1 src1_sel:DWORD
	v_fma_f16 v1, v56, v4, v1
	v_cvt_f32_f16_e32 v9, v1
	v_mov_b32_e32 v3, s3
	v_mad_u64_u32 v[0:1], s[0:1], s7, v18, v[0:1]
	s_mov_b32 s2, 0xd10d4986
	v_mov_b32_e32 v7, v0
	v_cvt_f64_f32_e32 v[0:1], v9
	s_mov_b32 s3, 0x3f5c5894
	v_mul_f64 v[0:1], v[0:1], s[2:3]
	s_movk_i32 s6, 0x1ff
	v_and_or_b32 v0, v1, s6, v0
	v_cmp_ne_u32_e32 vcc, 0, v0
	v_lshrrev_b32_e32 v9, 8, v1
	s_movk_i32 s7, 0xffe
	v_cndmask_b32_e64 v0, 0, 1, vcc
	v_bfe_u32 v10, v1, 20, 11
	v_and_or_b32 v9, v9, s7, v0
	v_sub_u32_e32 v11, 0x3f1, v10
	v_or_b32_e32 v0, 0x1000, v9
	v_med3_i32 v11, v11, 0, 13
	v_lshrrev_b32_e32 v12, v11, v0
	v_lshlrev_b32_e32 v11, v11, v12
	v_cmp_ne_u32_e32 vcc, v11, v0
	v_add_u32_e32 v10, 0xfffffc10, v10
	v_lshl_or_b32 v11, v10, 12, v9
	v_cndmask_b32_e64 v0, 0, 1, vcc
	v_or_b32_e32 v0, v12, v0
	v_cmp_gt_i32_e32 vcc, 1, v10
	v_mul_f16_sdwa v4, v56, v4 dst_sel:DWORD dst_unused:UNUSED_PAD src0_sel:WORD_1 src1_sel:DWORD
	v_fma_f16 v4, v56, v8, -v4
	v_cndmask_b32_e32 v0, v11, v0, vcc
	v_and_b32_e32 v11, 7, v0
	v_cmp_lt_i32_e32 vcc, 5, v11
	v_cmp_eq_u32_e64 s[0:1], 3, v11
	v_lshrrev_b32_e32 v0, 2, v0
	s_or_b64 vcc, s[0:1], vcc
	v_addc_co_u32_e32 v11, vcc, 0, v0, vcc
	v_mov_b32_e32 v0, 0x7c00
	v_cmp_gt_i32_e32 vcc, 31, v10
	v_cvt_f32_f16_e32 v4, v4
	s_movk_i32 s8, 0x40f
	v_cndmask_b32_e32 v11, v0, v11, vcc
	v_cmp_ne_u32_e32 vcc, 0, v9
	s_mov_b32 s9, 0x8000
	v_and_b32_sdwa v1, v1, s9 dst_sel:DWORD dst_unused:UNUSED_PAD src0_sel:WORD_1 src1_sel:DWORD
	v_cndmask_b32_e64 v9, 0, 1, vcc
	v_lshl_or_b32 v9, v9, 9, v0
	v_cmp_eq_u32_e32 vcc, s8, v10
	s_mov_b32 s10, 0xffff
	v_lshl_add_u64 v[2:3], v[6:7], 2, v[2:3]
	v_cndmask_b32_e32 v12, v11, v9, vcc
	v_cvt_f64_f32_e32 v[8:9], v4
	v_mul_f64 v[8:9], v[8:9], s[2:3]
	v_and_or_b32 v4, v9, s6, v8
	v_cmp_ne_u32_e32 vcc, 0, v4
	v_lshrrev_b32_e32 v8, 8, v9
	v_bfe_u32 v10, v9, 20, 11
	v_cndmask_b32_e64 v4, 0, 1, vcc
	v_and_or_b32 v4, v8, s7, v4
	v_sub_u32_e32 v11, 0x3f1, v10
	v_or_b32_e32 v8, 0x1000, v4
	v_med3_i32 v11, v11, 0, 13
	v_lshrrev_b32_e32 v13, v11, v8
	v_lshlrev_b32_e32 v11, v11, v13
	v_cmp_ne_u32_e32 vcc, v11, v8
	v_add_u32_e32 v10, 0xfffffc10, v10
	v_lshl_or_b32 v11, v10, 12, v4
	v_cndmask_b32_e64 v8, 0, 1, vcc
	v_or_b32_e32 v8, v13, v8
	v_cmp_gt_i32_e32 vcc, 1, v10
	v_bitop3_b32 v1, v1, s10, v12 bitop3:0xc8
	s_nop 0
	v_cndmask_b32_e32 v8, v11, v8, vcc
	v_and_b32_e32 v11, 7, v8
	v_cmp_lt_i32_e32 vcc, 5, v11
	v_cmp_eq_u32_e64 s[0:1], 3, v11
	v_lshrrev_b32_e32 v8, 2, v8
	s_or_b64 vcc, s[0:1], vcc
	v_addc_co_u32_e32 v8, vcc, 0, v8, vcc
	v_cmp_gt_i32_e32 vcc, 31, v10
	s_nop 1
	v_cndmask_b32_e32 v8, v0, v8, vcc
	v_cmp_ne_u32_e32 vcc, 0, v4
	s_nop 1
	v_cndmask_b32_e64 v4, 0, 1, vcc
	v_lshl_or_b32 v4, v4, 9, v0
	v_cmp_eq_u32_e32 vcc, s8, v10
	s_nop 1
	v_cndmask_b32_e32 v4, v8, v4, vcc
	v_lshrrev_b32_e32 v8, 16, v9
	v_and_or_b32 v13, v8, s9, v4
	v_mad_u64_u32 v[8:9], s[0:1], s4, v16, 0
	v_mov_b32_e32 v4, v9
	v_mad_u64_u32 v[10:11], s[0:1], s5, v16, v[4:5]
	v_lshrrev_b32_e32 v4, 16, v5
	v_mov_b32_e32 v9, v10
	v_mul_f16_sdwa v10, v55, v4 dst_sel:DWORD dst_unused:UNUSED_PAD src0_sel:WORD_1 src1_sel:DWORD
	v_fma_f16 v10, v55, v5, v10
	v_cvt_f32_f16_e32 v10, v10
	v_lshl_or_b32 v1, v13, 16, v1
	v_lshl_add_u64 v[2:3], v[8:9], 2, v[2:3]
	global_store_dword v[2:3], v1, off
	v_cvt_f64_f32_e32 v[6:7], v10
	v_mul_f64 v[6:7], v[6:7], s[2:3]
	v_and_or_b32 v1, v7, s6, v6
	v_cmp_ne_u32_e32 vcc, 0, v1
	v_lshrrev_b32_e32 v6, 8, v7
	v_bfe_u32 v8, v7, 20, 11
	v_cndmask_b32_e64 v1, 0, 1, vcc
	v_and_or_b32 v1, v6, s7, v1
	v_sub_u32_e32 v9, 0x3f1, v8
	v_or_b32_e32 v6, 0x1000, v1
	v_med3_i32 v9, v9, 0, 13
	v_lshrrev_b32_e32 v10, v9, v6
	v_lshlrev_b32_e32 v9, v9, v10
	v_cmp_ne_u32_e32 vcc, v9, v6
	v_add_u32_e32 v8, 0xfffffc10, v8
	v_lshl_or_b32 v9, v8, 12, v1
	v_cndmask_b32_e64 v6, 0, 1, vcc
	v_or_b32_e32 v6, v10, v6
	v_cmp_gt_i32_e32 vcc, 1, v8
	v_mul_f16_sdwa v5, v55, v5 dst_sel:DWORD dst_unused:UNUSED_PAD src0_sel:WORD_1 src1_sel:DWORD
	v_fma_f16 v4, v55, v4, -v5
	v_cndmask_b32_e32 v6, v9, v6, vcc
	v_and_b32_e32 v9, 7, v6
	v_cmp_lt_i32_e32 vcc, 5, v9
	v_cmp_eq_u32_e64 s[0:1], 3, v9
	v_cvt_f32_f16_e32 v4, v4
	v_lshrrev_b32_e32 v6, 2, v6
	s_or_b64 vcc, s[0:1], vcc
	v_addc_co_u32_e32 v6, vcc, 0, v6, vcc
	v_cmp_gt_i32_e32 vcc, 31, v8
	v_cvt_f64_f32_e32 v[4:5], v4
	v_mul_f64 v[4:5], v[4:5], s[2:3]
	v_cndmask_b32_e32 v6, v0, v6, vcc
	v_cmp_ne_u32_e32 vcc, 0, v1
	v_and_or_b32 v4, v5, s6, v4
	s_mulk_i32 s5, 0x88
	v_cndmask_b32_e64 v1, 0, 1, vcc
	v_lshl_or_b32 v1, v1, 9, v0
	v_cmp_eq_u32_e32 vcc, s8, v8
	v_bfe_u32 v8, v5, 20, 11
	v_sub_u32_e32 v9, 0x3f1, v8
	v_cndmask_b32_e32 v1, v6, v1, vcc
	v_cmp_ne_u32_e32 vcc, 0, v4
	v_and_b32_sdwa v6, v7, s9 dst_sel:DWORD dst_unused:UNUSED_PAD src0_sel:WORD_1 src1_sel:DWORD
	v_lshrrev_b32_e32 v7, 8, v5
	v_cndmask_b32_e64 v4, 0, 1, vcc
	v_and_or_b32 v4, v7, s7, v4
	v_or_b32_e32 v7, 0x1000, v4
	v_med3_i32 v9, v9, 0, 13
	v_lshrrev_b32_e32 v10, v9, v7
	v_lshlrev_b32_e32 v9, v9, v10
	v_cmp_ne_u32_e32 vcc, v9, v7
	v_add_u32_e32 v8, 0xfffffc10, v8
	v_lshl_or_b32 v9, v8, 12, v4
	v_cndmask_b32_e64 v7, 0, 1, vcc
	v_or_b32_e32 v7, v10, v7
	v_cmp_gt_i32_e32 vcc, 1, v8
	v_lshrrev_b32_e32 v5, 16, v5
	v_bitop3_b32 v1, v6, s10, v1 bitop3:0xc8
	v_cndmask_b32_e32 v7, v9, v7, vcc
	v_and_b32_e32 v9, 7, v7
	v_cmp_lt_i32_e32 vcc, 5, v9
	v_cmp_eq_u32_e64 s[0:1], 3, v9
	v_lshrrev_b32_e32 v7, 2, v7
	s_or_b64 vcc, s[0:1], vcc
	v_addc_co_u32_e32 v7, vcc, 0, v7, vcc
	v_cmp_gt_i32_e32 vcc, 31, v8
	s_nop 1
	v_cndmask_b32_e32 v7, v0, v7, vcc
	v_cmp_ne_u32_e32 vcc, 0, v4
	s_nop 1
	v_cndmask_b32_e64 v4, 0, 1, vcc
	v_lshl_or_b32 v4, v4, 9, v0
	v_cmp_eq_u32_e32 vcc, s8, v8
	s_nop 1
	v_cndmask_b32_e32 v4, v7, v4, vcc
	v_and_or_b32 v7, v5, s9, v4
	ds_read2_b32 v[4:5], v19 offset0:68 offset1:102
	v_lshl_or_b32 v6, v7, 16, v1
	v_mov_b32_e32 v1, 0x88
	v_mad_u64_u32 v[2:3], s[0:1], s4, v1, v[2:3]
	s_waitcnt lgkmcnt(0)
	v_lshrrev_b32_e32 v8, 16, v4
	v_mul_f16_sdwa v7, v54, v8 dst_sel:DWORD dst_unused:UNUSED_PAD src0_sel:WORD_1 src1_sel:DWORD
	v_fma_f16 v7, v54, v4, v7
	v_cvt_f32_f16_e32 v7, v7
	v_add_u32_e32 v3, s5, v3
	global_store_dword v[2:3], v6, off
	v_mul_f16_sdwa v4, v54, v4 dst_sel:DWORD dst_unused:UNUSED_PAD src0_sel:WORD_1 src1_sel:DWORD
	v_cvt_f64_f32_e32 v[6:7], v7
	v_mul_f64 v[6:7], v[6:7], s[2:3]
	v_and_or_b32 v6, v7, s6, v6
	v_cmp_ne_u32_e32 vcc, 0, v6
	v_lshrrev_b32_e32 v9, 8, v7
	v_bfe_u32 v10, v7, 20, 11
	v_cndmask_b32_e64 v6, 0, 1, vcc
	v_and_or_b32 v6, v9, s7, v6
	v_sub_u32_e32 v11, 0x3f1, v10
	v_or_b32_e32 v9, 0x1000, v6
	v_med3_i32 v11, v11, 0, 13
	v_lshrrev_b32_e32 v12, v11, v9
	v_lshlrev_b32_e32 v11, v11, v12
	v_cmp_ne_u32_e32 vcc, v11, v9
	v_add_u32_e32 v10, 0xfffffc10, v10
	v_lshl_or_b32 v11, v10, 12, v6
	v_cndmask_b32_e64 v9, 0, 1, vcc
	v_or_b32_e32 v9, v12, v9
	v_cmp_gt_i32_e32 vcc, 1, v10
	v_fma_f16 v4, v54, v8, -v4
	v_cvt_f32_f16_e32 v4, v4
	v_cndmask_b32_e32 v9, v11, v9, vcc
	v_and_b32_e32 v11, 7, v9
	v_cmp_lt_i32_e32 vcc, 5, v11
	v_cmp_eq_u32_e64 s[0:1], 3, v11
	v_lshrrev_b32_e32 v9, 2, v9
	s_or_b64 vcc, s[0:1], vcc
	v_addc_co_u32_e32 v9, vcc, 0, v9, vcc
	v_cmp_gt_i32_e32 vcc, 31, v10
	s_nop 1
	v_cndmask_b32_e32 v9, v0, v9, vcc
	v_cmp_ne_u32_e32 vcc, 0, v6
	s_nop 1
	v_cndmask_b32_e64 v6, 0, 1, vcc
	v_lshl_or_b32 v6, v6, 9, v0
	v_cmp_eq_u32_e32 vcc, s8, v10
	s_nop 1
	v_cndmask_b32_e32 v8, v9, v6, vcc
	v_and_b32_sdwa v9, v7, s9 dst_sel:DWORD dst_unused:UNUSED_PAD src0_sel:WORD_1 src1_sel:DWORD
	v_cvt_f64_f32_e32 v[6:7], v4
	v_mul_f64 v[6:7], v[6:7], s[2:3]
	v_and_or_b32 v4, v7, s6, v6
	v_cmp_ne_u32_e32 vcc, 0, v4
	v_lshrrev_b32_e32 v6, 8, v7
	v_bfe_u32 v10, v7, 20, 11
	v_cndmask_b32_e64 v4, 0, 1, vcc
	v_and_or_b32 v4, v6, s7, v4
	v_sub_u32_e32 v11, 0x3f1, v10
	v_or_b32_e32 v6, 0x1000, v4
	v_med3_i32 v11, v11, 0, 13
	v_lshrrev_b32_e32 v12, v11, v6
	v_lshlrev_b32_e32 v11, v11, v12
	v_cmp_ne_u32_e32 vcc, v11, v6
	v_add_u32_e32 v10, 0xfffffc10, v10
	v_lshl_or_b32 v11, v10, 12, v4
	v_cndmask_b32_e64 v6, 0, 1, vcc
	v_or_b32_e32 v6, v12, v6
	v_cmp_gt_i32_e32 vcc, 1, v10
	s_nop 1
	v_cndmask_b32_e32 v6, v11, v6, vcc
	v_and_b32_e32 v11, 7, v6
	v_cmp_lt_i32_e32 vcc, 5, v11
	v_cmp_eq_u32_e64 s[0:1], 3, v11
	v_lshrrev_b32_e32 v6, 2, v6
	s_or_b64 vcc, s[0:1], vcc
	v_addc_co_u32_e32 v6, vcc, 0, v6, vcc
	v_cmp_gt_i32_e32 vcc, 31, v10
	v_mad_u64_u32 v[2:3], s[0:1], s4, v1, v[2:3]
	s_nop 0
	v_cndmask_b32_e32 v6, v0, v6, vcc
	v_cmp_ne_u32_e32 vcc, 0, v4
	v_add_u32_e32 v3, s5, v3
	s_nop 0
	v_cndmask_b32_e64 v4, 0, 1, vcc
	v_lshl_or_b32 v4, v4, 9, v0
	v_cmp_eq_u32_e32 vcc, s8, v10
	s_nop 1
	v_cndmask_b32_e32 v4, v6, v4, vcc
	v_lshrrev_b32_e32 v6, 16, v7
	v_and_or_b32 v4, v6, s9, v4
	v_bitop3_b32 v6, v9, s10, v8 bitop3:0xc8
	v_lshrrev_b32_e32 v8, 16, v5
	v_lshl_or_b32 v4, v4, 16, v6
	v_mul_f16_sdwa v6, v53, v8 dst_sel:DWORD dst_unused:UNUSED_PAD src0_sel:WORD_1 src1_sel:DWORD
	v_fma_f16 v6, v53, v5, v6
	v_cvt_f32_f16_e32 v6, v6
	global_store_dword v[2:3], v4, off
	v_mul_f16_sdwa v5, v53, v5 dst_sel:DWORD dst_unused:UNUSED_PAD src0_sel:WORD_1 src1_sel:DWORD
	v_fma_f16 v5, v53, v8, -v5
	v_cvt_f64_f32_e32 v[6:7], v6
	v_mul_f64 v[6:7], v[6:7], s[2:3]
	v_and_or_b32 v4, v7, s6, v6
	v_cmp_ne_u32_e32 vcc, 0, v4
	v_lshrrev_b32_e32 v6, 8, v7
	v_bfe_u32 v9, v7, 20, 11
	v_cndmask_b32_e64 v4, 0, 1, vcc
	v_and_or_b32 v4, v6, s7, v4
	v_sub_u32_e32 v10, 0x3f1, v9
	v_or_b32_e32 v6, 0x1000, v4
	v_med3_i32 v10, v10, 0, 13
	v_lshrrev_b32_e32 v11, v10, v6
	v_lshlrev_b32_e32 v10, v10, v11
	v_cmp_ne_u32_e32 vcc, v10, v6
	v_add_u32_e32 v9, 0xfffffc10, v9
	v_lshl_or_b32 v10, v9, 12, v4
	v_cndmask_b32_e64 v6, 0, 1, vcc
	v_or_b32_e32 v6, v11, v6
	v_cmp_gt_i32_e32 vcc, 1, v9
	v_cvt_f32_f16_e32 v5, v5
	s_nop 0
	v_cndmask_b32_e32 v6, v10, v6, vcc
	v_and_b32_e32 v10, 7, v6
	v_cmp_lt_i32_e32 vcc, 5, v10
	v_cmp_eq_u32_e64 s[0:1], 3, v10
	v_lshrrev_b32_e32 v6, 2, v6
	s_or_b64 vcc, s[0:1], vcc
	v_addc_co_u32_e32 v6, vcc, 0, v6, vcc
	v_cmp_gt_i32_e32 vcc, 31, v9
	s_nop 1
	v_cndmask_b32_e32 v6, v0, v6, vcc
	v_cmp_ne_u32_e32 vcc, 0, v4
	s_nop 1
	v_cndmask_b32_e64 v4, 0, 1, vcc
	v_lshl_or_b32 v4, v4, 9, v0
	v_cmp_eq_u32_e32 vcc, s8, v9
	v_and_b32_sdwa v9, v7, s9 dst_sel:DWORD dst_unused:UNUSED_PAD src0_sel:WORD_1 src1_sel:DWORD
	s_nop 0
	v_cndmask_b32_e32 v8, v6, v4, vcc
	v_cvt_f64_f32_e32 v[4:5], v5
	v_mul_f64 v[4:5], v[4:5], s[2:3]
	v_and_or_b32 v4, v5, s6, v4
	v_cmp_ne_u32_e32 vcc, 0, v4
	v_lshrrev_b32_e32 v6, 8, v5
	v_bfe_u32 v7, v5, 20, 11
	v_cndmask_b32_e64 v4, 0, 1, vcc
	v_and_or_b32 v4, v6, s7, v4
	v_sub_u32_e32 v10, 0x3f1, v7
	v_or_b32_e32 v6, 0x1000, v4
	v_med3_i32 v10, v10, 0, 13
	v_lshrrev_b32_e32 v11, v10, v6
	v_lshlrev_b32_e32 v10, v10, v11
	v_cmp_ne_u32_e32 vcc, v10, v6
	v_add_u32_e32 v7, 0xfffffc10, v7
	v_lshl_or_b32 v10, v7, 12, v4
	v_cndmask_b32_e64 v6, 0, 1, vcc
	v_or_b32_e32 v6, v11, v6
	v_cmp_gt_i32_e32 vcc, 1, v7
	v_lshrrev_b32_e32 v5, 16, v5
	s_nop 0
	v_cndmask_b32_e32 v6, v10, v6, vcc
	v_and_b32_e32 v10, 7, v6
	v_cmp_lt_i32_e32 vcc, 5, v10
	v_cmp_eq_u32_e64 s[0:1], 3, v10
	v_lshrrev_b32_e32 v6, 2, v6
	s_or_b64 vcc, s[0:1], vcc
	v_addc_co_u32_e32 v6, vcc, 0, v6, vcc
	v_cmp_gt_i32_e32 vcc, 31, v7
	v_mad_u64_u32 v[2:3], s[0:1], s4, v1, v[2:3]
	s_nop 0
	v_cndmask_b32_e32 v6, v0, v6, vcc
	v_cmp_ne_u32_e32 vcc, 0, v4
	v_add_u32_e32 v3, s5, v3
	s_nop 0
	v_cndmask_b32_e64 v4, 0, 1, vcc
	v_lshl_or_b32 v4, v4, 9, v0
	v_cmp_eq_u32_e32 vcc, s8, v7
	s_nop 1
	v_cndmask_b32_e32 v4, v6, v4, vcc
	ds_read2_b32 v[6:7], v19 offset0:136 offset1:170
	v_and_or_b32 v4, v5, s9, v4
	v_bitop3_b32 v5, v9, s10, v8 bitop3:0xc8
	v_lshl_or_b32 v4, v4, 16, v5
	global_store_dword v[2:3], v4, off
	s_waitcnt lgkmcnt(0)
	v_lshrrev_b32_e32 v8, 16, v6
	v_mul_f16_sdwa v5, v52, v8 dst_sel:DWORD dst_unused:UNUSED_PAD src0_sel:WORD_1 src1_sel:DWORD
	v_fma_f16 v5, v52, v6, v5
	v_cvt_f32_f16_e32 v5, v5
	v_mul_f16_sdwa v6, v52, v6 dst_sel:DWORD dst_unused:UNUSED_PAD src0_sel:WORD_1 src1_sel:DWORD
	v_fma_f16 v6, v52, v8, -v6
	v_cvt_f32_f16_e32 v6, v6
	v_cvt_f64_f32_e32 v[4:5], v5
	v_mul_f64 v[4:5], v[4:5], s[2:3]
	v_and_or_b32 v4, v5, s6, v4
	v_cmp_ne_u32_e32 vcc, 0, v4
	v_lshrrev_b32_e32 v9, 8, v5
	v_bfe_u32 v10, v5, 20, 11
	v_cndmask_b32_e64 v4, 0, 1, vcc
	v_and_or_b32 v4, v9, s7, v4
	v_sub_u32_e32 v11, 0x3f1, v10
	v_or_b32_e32 v9, 0x1000, v4
	v_med3_i32 v11, v11, 0, 13
	v_lshrrev_b32_e32 v12, v11, v9
	v_lshlrev_b32_e32 v11, v11, v12
	v_cmp_ne_u32_e32 vcc, v11, v9
	v_add_u32_e32 v10, 0xfffffc10, v10
	v_lshl_or_b32 v11, v10, 12, v4
	v_cndmask_b32_e64 v9, 0, 1, vcc
	v_or_b32_e32 v9, v12, v9
	v_cmp_gt_i32_e32 vcc, 1, v10
	s_nop 1
	v_cndmask_b32_e32 v9, v11, v9, vcc
	v_and_b32_e32 v11, 7, v9
	v_cmp_lt_i32_e32 vcc, 5, v11
	v_cmp_eq_u32_e64 s[0:1], 3, v11
	v_lshrrev_b32_e32 v9, 2, v9
	s_or_b64 vcc, s[0:1], vcc
	v_addc_co_u32_e32 v9, vcc, 0, v9, vcc
	v_cmp_gt_i32_e32 vcc, 31, v10
	s_nop 1
	v_cndmask_b32_e32 v9, v0, v9, vcc
	v_cmp_ne_u32_e32 vcc, 0, v4
	s_nop 1
	v_cndmask_b32_e64 v4, 0, 1, vcc
	v_lshl_or_b32 v4, v4, 9, v0
	v_cmp_eq_u32_e32 vcc, s8, v10
	s_nop 1
	v_cndmask_b32_e32 v8, v9, v4, vcc
	v_and_b32_sdwa v9, v5, s9 dst_sel:DWORD dst_unused:UNUSED_PAD src0_sel:WORD_1 src1_sel:DWORD
	v_cvt_f64_f32_e32 v[4:5], v6
	v_mul_f64 v[4:5], v[4:5], s[2:3]
	v_and_or_b32 v4, v5, s6, v4
	v_cmp_ne_u32_e32 vcc, 0, v4
	v_lshrrev_b32_e32 v6, 8, v5
	v_bfe_u32 v10, v5, 20, 11
	v_cndmask_b32_e64 v4, 0, 1, vcc
	v_and_or_b32 v4, v6, s7, v4
	v_sub_u32_e32 v11, 0x3f1, v10
	v_or_b32_e32 v6, 0x1000, v4
	v_med3_i32 v11, v11, 0, 13
	v_lshrrev_b32_e32 v12, v11, v6
	v_lshlrev_b32_e32 v11, v11, v12
	v_cmp_ne_u32_e32 vcc, v11, v6
	v_add_u32_e32 v10, 0xfffffc10, v10
	v_lshl_or_b32 v11, v10, 12, v4
	v_cndmask_b32_e64 v6, 0, 1, vcc
	v_or_b32_e32 v6, v12, v6
	v_cmp_gt_i32_e32 vcc, 1, v10
	v_lshrrev_b32_e32 v5, 16, v5
	s_nop 0
	v_cndmask_b32_e32 v6, v11, v6, vcc
	v_and_b32_e32 v11, 7, v6
	v_cmp_lt_i32_e32 vcc, 5, v11
	v_cmp_eq_u32_e64 s[0:1], 3, v11
	v_lshrrev_b32_e32 v6, 2, v6
	s_or_b64 vcc, s[0:1], vcc
	v_addc_co_u32_e32 v6, vcc, 0, v6, vcc
	v_cmp_gt_i32_e32 vcc, 31, v10
	v_mad_u64_u32 v[2:3], s[0:1], s4, v1, v[2:3]
	s_nop 0
	v_cndmask_b32_e32 v6, v0, v6, vcc
	v_cmp_ne_u32_e32 vcc, 0, v4
	v_add_u32_e32 v3, s5, v3
	s_nop 0
	v_cndmask_b32_e64 v4, 0, 1, vcc
	v_lshl_or_b32 v4, v4, 9, v0
	v_cmp_eq_u32_e32 vcc, s8, v10
	s_nop 1
	v_cndmask_b32_e32 v4, v6, v4, vcc
	v_and_or_b32 v4, v5, s9, v4
	v_bitop3_b32 v5, v9, s10, v8 bitop3:0xc8
	v_lshrrev_b32_e32 v6, 16, v7
	v_lshl_or_b32 v4, v4, 16, v5
	v_mul_f16_sdwa v5, v51, v6 dst_sel:DWORD dst_unused:UNUSED_PAD src0_sel:WORD_1 src1_sel:DWORD
	v_fma_f16 v5, v51, v7, v5
	v_cvt_f32_f16_e32 v5, v5
	global_store_dword v[2:3], v4, off
	v_mul_f16_sdwa v7, v51, v7 dst_sel:DWORD dst_unused:UNUSED_PAD src0_sel:WORD_1 src1_sel:DWORD
	v_fma_f16 v6, v51, v6, -v7
	v_cvt_f64_f32_e32 v[4:5], v5
	v_mul_f64 v[4:5], v[4:5], s[2:3]
	v_and_or_b32 v4, v5, s6, v4
	v_cmp_ne_u32_e32 vcc, 0, v4
	v_lshrrev_b32_e32 v8, 8, v5
	v_bfe_u32 v9, v5, 20, 11
	v_cndmask_b32_e64 v4, 0, 1, vcc
	v_and_or_b32 v4, v8, s7, v4
	v_sub_u32_e32 v10, 0x3f1, v9
	v_or_b32_e32 v8, 0x1000, v4
	v_med3_i32 v10, v10, 0, 13
	v_lshrrev_b32_e32 v11, v10, v8
	v_lshlrev_b32_e32 v10, v10, v11
	v_cmp_ne_u32_e32 vcc, v10, v8
	v_add_u32_e32 v9, 0xfffffc10, v9
	v_lshl_or_b32 v10, v9, 12, v4
	v_cndmask_b32_e64 v8, 0, 1, vcc
	v_or_b32_e32 v8, v11, v8
	v_cmp_gt_i32_e32 vcc, 1, v9
	v_cvt_f32_f16_e32 v6, v6
	s_nop 0
	v_cndmask_b32_e32 v8, v10, v8, vcc
	v_and_b32_e32 v10, 7, v8
	v_cmp_lt_i32_e32 vcc, 5, v10
	v_cmp_eq_u32_e64 s[0:1], 3, v10
	v_lshrrev_b32_e32 v8, 2, v8
	s_or_b64 vcc, s[0:1], vcc
	v_addc_co_u32_e32 v8, vcc, 0, v8, vcc
	v_cmp_gt_i32_e32 vcc, 31, v9
	s_nop 1
	v_cndmask_b32_e32 v8, v0, v8, vcc
	v_cmp_ne_u32_e32 vcc, 0, v4
	s_nop 1
	v_cndmask_b32_e64 v4, 0, 1, vcc
	v_lshl_or_b32 v4, v4, 9, v0
	v_cmp_eq_u32_e32 vcc, s8, v9
	v_and_b32_sdwa v9, v5, s9 dst_sel:DWORD dst_unused:UNUSED_PAD src0_sel:WORD_1 src1_sel:DWORD
	s_nop 0
	v_cndmask_b32_e32 v8, v8, v4, vcc
	v_cvt_f64_f32_e32 v[4:5], v6
	v_mul_f64 v[4:5], v[4:5], s[2:3]
	v_and_or_b32 v4, v5, s6, v4
	v_cmp_ne_u32_e32 vcc, 0, v4
	v_lshrrev_b32_e32 v6, 8, v5
	v_bfe_u32 v7, v5, 20, 11
	v_cndmask_b32_e64 v4, 0, 1, vcc
	v_and_or_b32 v4, v6, s7, v4
	v_sub_u32_e32 v10, 0x3f1, v7
	v_or_b32_e32 v6, 0x1000, v4
	v_med3_i32 v10, v10, 0, 13
	v_lshrrev_b32_e32 v11, v10, v6
	v_lshlrev_b32_e32 v10, v10, v11
	v_cmp_ne_u32_e32 vcc, v10, v6
	v_add_u32_e32 v7, 0xfffffc10, v7
	v_lshl_or_b32 v10, v7, 12, v4
	v_cndmask_b32_e64 v6, 0, 1, vcc
	v_or_b32_e32 v6, v11, v6
	v_cmp_gt_i32_e32 vcc, 1, v7
	v_lshrrev_b32_e32 v5, 16, v5
	s_nop 0
	v_cndmask_b32_e32 v6, v10, v6, vcc
	v_and_b32_e32 v10, 7, v6
	v_cmp_lt_i32_e32 vcc, 5, v10
	v_cmp_eq_u32_e64 s[0:1], 3, v10
	v_lshrrev_b32_e32 v6, 2, v6
	s_or_b64 vcc, s[0:1], vcc
	v_addc_co_u32_e32 v6, vcc, 0, v6, vcc
	v_cmp_gt_i32_e32 vcc, 31, v7
	v_mad_u64_u32 v[2:3], s[0:1], s4, v1, v[2:3]
	s_nop 0
	v_cndmask_b32_e32 v6, v0, v6, vcc
	v_cmp_ne_u32_e32 vcc, 0, v4
	v_add_u32_e32 v3, s5, v3
	s_nop 0
	v_cndmask_b32_e64 v4, 0, 1, vcc
	v_lshl_or_b32 v4, v4, 9, v0
	v_cmp_eq_u32_e32 vcc, s8, v7
	s_nop 1
	v_cndmask_b32_e32 v4, v6, v4, vcc
	ds_read2_b32 v[6:7], v19 offset0:204 offset1:238
	v_and_or_b32 v4, v5, s9, v4
	v_bitop3_b32 v5, v9, s10, v8 bitop3:0xc8
	v_lshl_or_b32 v4, v4, 16, v5
	global_store_dword v[2:3], v4, off
	s_waitcnt lgkmcnt(0)
	v_lshrrev_b32_e32 v8, 16, v6
	v_mul_f16_sdwa v5, v50, v8 dst_sel:DWORD dst_unused:UNUSED_PAD src0_sel:WORD_1 src1_sel:DWORD
	v_fma_f16 v5, v50, v6, v5
	v_cvt_f32_f16_e32 v5, v5
	v_mul_f16_sdwa v6, v50, v6 dst_sel:DWORD dst_unused:UNUSED_PAD src0_sel:WORD_1 src1_sel:DWORD
	v_fma_f16 v6, v50, v8, -v6
	v_cvt_f32_f16_e32 v6, v6
	v_cvt_f64_f32_e32 v[4:5], v5
	v_mul_f64 v[4:5], v[4:5], s[2:3]
	v_and_or_b32 v4, v5, s6, v4
	v_cmp_ne_u32_e32 vcc, 0, v4
	v_lshrrev_b32_e32 v9, 8, v5
	v_bfe_u32 v10, v5, 20, 11
	v_cndmask_b32_e64 v4, 0, 1, vcc
	v_and_or_b32 v4, v9, s7, v4
	v_sub_u32_e32 v11, 0x3f1, v10
	v_or_b32_e32 v9, 0x1000, v4
	v_med3_i32 v11, v11, 0, 13
	v_lshrrev_b32_e32 v12, v11, v9
	v_lshlrev_b32_e32 v11, v11, v12
	v_cmp_ne_u32_e32 vcc, v11, v9
	v_add_u32_e32 v10, 0xfffffc10, v10
	v_lshl_or_b32 v11, v10, 12, v4
	v_cndmask_b32_e64 v9, 0, 1, vcc
	v_or_b32_e32 v9, v12, v9
	v_cmp_gt_i32_e32 vcc, 1, v10
	s_nop 1
	v_cndmask_b32_e32 v9, v11, v9, vcc
	v_and_b32_e32 v11, 7, v9
	v_cmp_lt_i32_e32 vcc, 5, v11
	v_cmp_eq_u32_e64 s[0:1], 3, v11
	v_lshrrev_b32_e32 v9, 2, v9
	s_or_b64 vcc, s[0:1], vcc
	v_addc_co_u32_e32 v9, vcc, 0, v9, vcc
	v_cmp_gt_i32_e32 vcc, 31, v10
	s_nop 1
	v_cndmask_b32_e32 v9, v0, v9, vcc
	v_cmp_ne_u32_e32 vcc, 0, v4
	s_nop 1
	v_cndmask_b32_e64 v4, 0, 1, vcc
	v_lshl_or_b32 v4, v4, 9, v0
	v_cmp_eq_u32_e32 vcc, s8, v10
	s_nop 1
	v_cndmask_b32_e32 v8, v9, v4, vcc
	v_and_b32_sdwa v9, v5, s9 dst_sel:DWORD dst_unused:UNUSED_PAD src0_sel:WORD_1 src1_sel:DWORD
	v_cvt_f64_f32_e32 v[4:5], v6
	v_mul_f64 v[4:5], v[4:5], s[2:3]
	v_and_or_b32 v4, v5, s6, v4
	v_cmp_ne_u32_e32 vcc, 0, v4
	v_lshrrev_b32_e32 v6, 8, v5
	v_bfe_u32 v10, v5, 20, 11
	v_cndmask_b32_e64 v4, 0, 1, vcc
	v_and_or_b32 v4, v6, s7, v4
	v_sub_u32_e32 v11, 0x3f1, v10
	v_or_b32_e32 v6, 0x1000, v4
	v_med3_i32 v11, v11, 0, 13
	v_lshrrev_b32_e32 v12, v11, v6
	v_lshlrev_b32_e32 v11, v11, v12
	v_cmp_ne_u32_e32 vcc, v11, v6
	v_add_u32_e32 v10, 0xfffffc10, v10
	v_lshl_or_b32 v11, v10, 12, v4
	v_cndmask_b32_e64 v6, 0, 1, vcc
	v_or_b32_e32 v6, v12, v6
	v_cmp_gt_i32_e32 vcc, 1, v10
	v_lshrrev_b32_e32 v5, 16, v5
	s_nop 0
	v_cndmask_b32_e32 v6, v11, v6, vcc
	v_and_b32_e32 v11, 7, v6
	v_cmp_lt_i32_e32 vcc, 5, v11
	v_cmp_eq_u32_e64 s[0:1], 3, v11
	v_lshrrev_b32_e32 v6, 2, v6
	s_or_b64 vcc, s[0:1], vcc
	v_addc_co_u32_e32 v6, vcc, 0, v6, vcc
	v_cmp_gt_i32_e32 vcc, 31, v10
	s_nop 1
	v_cndmask_b32_e32 v6, v0, v6, vcc
	v_cmp_ne_u32_e32 vcc, 0, v4
	s_nop 1
	v_cndmask_b32_e64 v4, 0, 1, vcc
	v_lshl_or_b32 v4, v4, 9, v0
	v_cmp_eq_u32_e32 vcc, s8, v10
	s_nop 1
	v_cndmask_b32_e32 v4, v6, v4, vcc
	v_and_or_b32 v4, v5, s9, v4
	v_bitop3_b32 v5, v9, s10, v8 bitop3:0xc8
	v_lshrrev_b32_e32 v8, 16, v7
	v_lshl_or_b32 v6, v4, 16, v5
	v_mul_f16_sdwa v4, v48, v8 dst_sel:DWORD dst_unused:UNUSED_PAD src0_sel:WORD_1 src1_sel:DWORD
	v_fma_f16 v4, v48, v7, v4
	v_cvt_f32_f16_e32 v9, v4
	v_mad_u64_u32 v[4:5], s[0:1], s4, v1, v[2:3]
	v_add_u32_e32 v5, s5, v5
	v_cvt_f64_f32_e32 v[2:3], v9
	v_mul_f64 v[2:3], v[2:3], s[2:3]
	v_and_or_b32 v2, v3, s6, v2
	v_cmp_ne_u32_e32 vcc, 0, v2
	global_store_dword v[4:5], v6, off
	v_lshrrev_b32_e32 v6, 8, v3
	v_cndmask_b32_e64 v2, 0, 1, vcc
	v_bfe_u32 v9, v3, 20, 11
	v_and_or_b32 v2, v6, s7, v2
	v_sub_u32_e32 v10, 0x3f1, v9
	v_or_b32_e32 v6, 0x1000, v2
	v_med3_i32 v10, v10, 0, 13
	v_lshrrev_b32_e32 v11, v10, v6
	v_lshlrev_b32_e32 v10, v10, v11
	v_cmp_ne_u32_e32 vcc, v10, v6
	v_add_u32_e32 v9, 0xfffffc10, v9
	v_lshl_or_b32 v10, v9, 12, v2
	v_cndmask_b32_e64 v6, 0, 1, vcc
	v_or_b32_e32 v6, v11, v6
	v_cmp_gt_i32_e32 vcc, 1, v9
	v_mul_f16_sdwa v7, v48, v7 dst_sel:DWORD dst_unused:UNUSED_PAD src0_sel:WORD_1 src1_sel:DWORD
	v_fma_f16 v7, v48, v8, -v7
	v_cndmask_b32_e32 v6, v10, v6, vcc
	v_and_b32_e32 v10, 7, v6
	v_cmp_lt_i32_e32 vcc, 5, v10
	v_cmp_eq_u32_e64 s[0:1], 3, v10
	v_lshrrev_b32_e32 v6, 2, v6
	s_or_b64 vcc, s[0:1], vcc
	v_addc_co_u32_e32 v6, vcc, 0, v6, vcc
	v_cmp_gt_i32_e32 vcc, 31, v9
	v_cvt_f32_f16_e32 v7, v7
	s_nop 0
	v_cndmask_b32_e32 v6, v0, v6, vcc
	v_cmp_ne_u32_e32 vcc, 0, v2
	s_nop 1
	v_cndmask_b32_e64 v2, 0, 1, vcc
	v_lshl_or_b32 v2, v2, 9, v0
	v_cmp_eq_u32_e32 vcc, s8, v9
	v_and_b32_sdwa v9, v3, s9 dst_sel:DWORD dst_unused:UNUSED_PAD src0_sel:WORD_1 src1_sel:DWORD
	s_nop 0
	v_cndmask_b32_e32 v8, v6, v2, vcc
	v_cvt_f64_f32_e32 v[2:3], v7
	v_mul_f64 v[2:3], v[2:3], s[2:3]
	v_and_or_b32 v2, v3, s6, v2
	v_cmp_ne_u32_e32 vcc, 0, v2
	v_lshrrev_b32_e32 v6, 8, v3
	v_bfe_u32 v7, v3, 20, 11
	v_cndmask_b32_e64 v2, 0, 1, vcc
	v_and_or_b32 v2, v6, s7, v2
	v_sub_u32_e32 v10, 0x3f1, v7
	v_or_b32_e32 v6, 0x1000, v2
	v_med3_i32 v10, v10, 0, 13
	v_lshrrev_b32_e32 v11, v10, v6
	v_lshlrev_b32_e32 v10, v10, v11
	v_cmp_ne_u32_e32 vcc, v10, v6
	v_add_u32_e32 v7, 0xfffffc10, v7
	v_lshl_or_b32 v10, v7, 12, v2
	v_cndmask_b32_e64 v6, 0, 1, vcc
	v_or_b32_e32 v6, v11, v6
	v_cmp_gt_i32_e32 vcc, 1, v7
	v_lshrrev_b32_e32 v3, 16, v3
	v_bitop3_b32 v8, v9, s10, v8 bitop3:0xc8
	v_cndmask_b32_e32 v6, v10, v6, vcc
	v_and_b32_e32 v10, 7, v6
	v_cmp_lt_i32_e32 vcc, 5, v10
	v_cmp_eq_u32_e64 s[0:1], 3, v10
	v_lshrrev_b32_e32 v6, 2, v6
	s_or_b64 vcc, s[0:1], vcc
	v_addc_co_u32_e32 v6, vcc, 0, v6, vcc
	v_cmp_gt_i32_e32 vcc, 31, v7
	v_mad_u64_u32 v[4:5], s[0:1], s4, v1, v[4:5]
	s_nop 0
	v_cndmask_b32_e32 v6, v0, v6, vcc
	v_cmp_ne_u32_e32 vcc, 0, v2
	v_add_u32_e32 v5, s5, v5
	s_nop 0
	v_cndmask_b32_e64 v2, 0, 1, vcc
	v_lshl_or_b32 v2, v2, 9, v0
	v_cmp_eq_u32_e32 vcc, s8, v7
	s_nop 1
	v_cndmask_b32_e32 v10, v6, v2, vcc
	v_add_u32_e32 v2, 0x400, v19
	ds_read2_b32 v[6:7], v2 offset0:16 offset1:50
	v_and_or_b32 v3, v3, s9, v10
	v_lshl_or_b32 v3, v3, 16, v8
	global_store_dword v[4:5], v3, off
	s_waitcnt lgkmcnt(0)
	v_lshrrev_b32_e32 v10, 16, v6
	v_mul_f16_sdwa v8, v49, v10 dst_sel:DWORD dst_unused:UNUSED_PAD src0_sel:WORD_1 src1_sel:DWORD
	v_fma_f16 v8, v49, v6, v8
	v_cvt_f32_f16_e32 v8, v8
	v_mul_f16_sdwa v6, v49, v6 dst_sel:DWORD dst_unused:UNUSED_PAD src0_sel:WORD_1 src1_sel:DWORD
	v_fma_f16 v6, v49, v10, -v6
	v_cvt_f32_f16_e32 v6, v6
	v_cvt_f64_f32_e32 v[8:9], v8
	v_mul_f64 v[8:9], v[8:9], s[2:3]
	v_and_or_b32 v3, v9, s6, v8
	v_cmp_ne_u32_e32 vcc, 0, v3
	v_lshrrev_b32_e32 v8, 8, v9
	v_bfe_u32 v11, v9, 20, 11
	v_cndmask_b32_e64 v3, 0, 1, vcc
	v_and_or_b32 v3, v8, s7, v3
	v_sub_u32_e32 v12, 0x3f1, v11
	v_or_b32_e32 v8, 0x1000, v3
	v_med3_i32 v12, v12, 0, 13
	v_lshrrev_b32_e32 v13, v12, v8
	v_lshlrev_b32_e32 v12, v12, v13
	v_cmp_ne_u32_e32 vcc, v12, v8
	v_add_u32_e32 v11, 0xfffffc10, v11
	v_lshl_or_b32 v12, v11, 12, v3
	v_cndmask_b32_e64 v8, 0, 1, vcc
	v_or_b32_e32 v8, v13, v8
	v_cmp_gt_i32_e32 vcc, 1, v11
	v_and_b32_sdwa v10, v9, s9 dst_sel:DWORD dst_unused:UNUSED_PAD src0_sel:WORD_1 src1_sel:DWORD
	s_nop 0
	v_cndmask_b32_e32 v8, v12, v8, vcc
	v_and_b32_e32 v12, 7, v8
	v_cmp_lt_i32_e32 vcc, 5, v12
	v_cmp_eq_u32_e64 s[0:1], 3, v12
	v_lshrrev_b32_e32 v8, 2, v8
	s_or_b64 vcc, s[0:1], vcc
	v_addc_co_u32_e32 v8, vcc, 0, v8, vcc
	v_cmp_gt_i32_e32 vcc, 31, v11
	s_nop 1
	v_cndmask_b32_e32 v8, v0, v8, vcc
	v_cmp_ne_u32_e32 vcc, 0, v3
	s_nop 1
	v_cndmask_b32_e64 v3, 0, 1, vcc
	v_lshl_or_b32 v3, v3, 9, v0
	v_cmp_eq_u32_e32 vcc, s8, v11
	s_nop 1
	v_cndmask_b32_e32 v3, v8, v3, vcc
	v_cvt_f64_f32_e32 v[8:9], v6
	v_mul_f64 v[8:9], v[8:9], s[2:3]
	v_and_or_b32 v6, v9, s6, v8
	v_cmp_ne_u32_e32 vcc, 0, v6
	v_lshrrev_b32_e32 v8, 8, v9
	v_bfe_u32 v11, v9, 20, 11
	v_cndmask_b32_e64 v6, 0, 1, vcc
	v_and_or_b32 v6, v8, s7, v6
	v_sub_u32_e32 v12, 0x3f1, v11
	v_or_b32_e32 v8, 0x1000, v6
	v_med3_i32 v12, v12, 0, 13
	v_lshrrev_b32_e32 v13, v12, v8
	v_lshlrev_b32_e32 v12, v12, v13
	v_cmp_ne_u32_e32 vcc, v12, v8
	v_add_u32_e32 v11, 0xfffffc10, v11
	v_lshl_or_b32 v12, v11, 12, v6
	v_cndmask_b32_e64 v8, 0, 1, vcc
	v_or_b32_e32 v8, v13, v8
	v_cmp_gt_i32_e32 vcc, 1, v11
	v_bitop3_b32 v3, v10, s10, v3 bitop3:0xc8
	s_nop 0
	v_cndmask_b32_e32 v8, v12, v8, vcc
	v_and_b32_e32 v12, 7, v8
	v_cmp_lt_i32_e32 vcc, 5, v12
	v_cmp_eq_u32_e64 s[0:1], 3, v12
	v_lshrrev_b32_e32 v8, 2, v8
	s_or_b64 vcc, s[0:1], vcc
	v_addc_co_u32_e32 v8, vcc, 0, v8, vcc
	v_cmp_gt_i32_e32 vcc, 31, v11
	v_mad_u64_u32 v[4:5], s[0:1], s4, v1, v[4:5]
	s_nop 0
	v_cndmask_b32_e32 v8, v0, v8, vcc
	v_cmp_ne_u32_e32 vcc, 0, v6
	v_add_u32_e32 v5, s5, v5
	s_nop 0
	v_cndmask_b32_e64 v6, 0, 1, vcc
	v_lshl_or_b32 v6, v6, 9, v0
	v_cmp_eq_u32_e32 vcc, s8, v11
	s_nop 1
	v_cndmask_b32_e32 v6, v8, v6, vcc
	v_lshrrev_b32_e32 v8, 16, v9
	v_and_or_b32 v6, v8, s9, v6
	v_lshl_or_b32 v3, v6, 16, v3
	v_lshrrev_b32_e32 v6, 16, v7
	v_mul_f16_sdwa v8, v47, v6 dst_sel:DWORD dst_unused:UNUSED_PAD src0_sel:WORD_1 src1_sel:DWORD
	v_fma_f16 v8, v47, v7, v8
	v_cvt_f32_f16_e32 v8, v8
	global_store_dword v[4:5], v3, off
	v_mul_f16_sdwa v7, v47, v7 dst_sel:DWORD dst_unused:UNUSED_PAD src0_sel:WORD_1 src1_sel:DWORD
	v_fma_f16 v6, v47, v6, -v7
	v_cvt_f64_f32_e32 v[8:9], v8
	v_mul_f64 v[8:9], v[8:9], s[2:3]
	v_and_or_b32 v3, v9, s6, v8
	v_cmp_ne_u32_e32 vcc, 0, v3
	v_lshrrev_b32_e32 v8, 8, v9
	v_bfe_u32 v10, v9, 20, 11
	v_cndmask_b32_e64 v3, 0, 1, vcc
	v_and_or_b32 v3, v8, s7, v3
	v_sub_u32_e32 v11, 0x3f1, v10
	v_or_b32_e32 v8, 0x1000, v3
	v_med3_i32 v11, v11, 0, 13
	v_lshrrev_b32_e32 v12, v11, v8
	v_lshlrev_b32_e32 v11, v11, v12
	v_cmp_ne_u32_e32 vcc, v11, v8
	v_add_u32_e32 v10, 0xfffffc10, v10
	v_lshl_or_b32 v11, v10, 12, v3
	v_cndmask_b32_e64 v8, 0, 1, vcc
	v_or_b32_e32 v8, v12, v8
	v_cmp_gt_i32_e32 vcc, 1, v10
	v_cvt_f32_f16_e32 v6, v6
	v_cvt_f64_f32_e32 v[6:7], v6
	v_cndmask_b32_e32 v8, v11, v8, vcc
	v_and_b32_e32 v11, 7, v8
	v_cmp_lt_i32_e32 vcc, 5, v11
	v_cmp_eq_u32_e64 s[0:1], 3, v11
	v_lshrrev_b32_e32 v8, 2, v8
	s_or_b64 vcc, s[0:1], vcc
	v_addc_co_u32_e32 v8, vcc, 0, v8, vcc
	v_cmp_gt_i32_e32 vcc, 31, v10
	v_mul_f64 v[6:7], v[6:7], s[2:3]
	v_and_or_b32 v6, v7, s6, v6
	v_cndmask_b32_e32 v8, v0, v8, vcc
	v_cmp_ne_u32_e32 vcc, 0, v3
	s_nop 1
	v_cndmask_b32_e64 v3, 0, 1, vcc
	v_lshl_or_b32 v3, v3, 9, v0
	v_cmp_eq_u32_e32 vcc, s8, v10
	v_and_b32_sdwa v10, v9, s9 dst_sel:DWORD dst_unused:UNUSED_PAD src0_sel:WORD_1 src1_sel:DWORD
	v_bfe_u32 v9, v7, 20, 11
	v_cndmask_b32_e32 v3, v8, v3, vcc
	v_cmp_ne_u32_e32 vcc, 0, v6
	v_lshrrev_b32_e32 v8, 8, v7
	v_sub_u32_e32 v11, 0x3f1, v9
	v_cndmask_b32_e64 v6, 0, 1, vcc
	v_and_or_b32 v6, v8, s7, v6
	v_or_b32_e32 v8, 0x1000, v6
	v_med3_i32 v11, v11, 0, 13
	v_lshrrev_b32_e32 v12, v11, v8
	v_lshlrev_b32_e32 v11, v11, v12
	v_cmp_ne_u32_e32 vcc, v11, v8
	v_add_u32_e32 v9, 0xfffffc10, v9
	v_lshl_or_b32 v11, v9, 12, v6
	v_cndmask_b32_e64 v8, 0, 1, vcc
	v_or_b32_e32 v8, v12, v8
	v_cmp_gt_i32_e32 vcc, 1, v9
	v_lshrrev_b32_e32 v7, 16, v7
	v_bitop3_b32 v3, v10, s10, v3 bitop3:0xc8
	v_cndmask_b32_e32 v8, v11, v8, vcc
	v_and_b32_e32 v11, 7, v8
	v_cmp_lt_i32_e32 vcc, 5, v11
	v_cmp_eq_u32_e64 s[0:1], 3, v11
	v_lshrrev_b32_e32 v8, 2, v8
	s_or_b64 vcc, s[0:1], vcc
	v_addc_co_u32_e32 v8, vcc, 0, v8, vcc
	v_cmp_gt_i32_e32 vcc, 31, v9
	v_mad_u64_u32 v[4:5], s[0:1], s4, v1, v[4:5]
	s_nop 0
	v_cndmask_b32_e32 v8, v0, v8, vcc
	v_cmp_ne_u32_e32 vcc, 0, v6
	v_add_u32_e32 v5, s5, v5
	s_nop 0
	v_cndmask_b32_e64 v6, 0, 1, vcc
	v_lshl_or_b32 v6, v6, 9, v0
	v_cmp_eq_u32_e32 vcc, s8, v9
	s_nop 1
	v_cndmask_b32_e32 v6, v8, v6, vcc
	ds_read2_b32 v[8:9], v2 offset0:84 offset1:118
	v_and_or_b32 v6, v7, s9, v6
	v_lshl_or_b32 v3, v6, 16, v3
	global_store_dword v[4:5], v3, off
	s_waitcnt lgkmcnt(0)
	v_lshrrev_b32_e32 v10, 16, v8
	v_mul_f16_sdwa v6, v46, v10 dst_sel:DWORD dst_unused:UNUSED_PAD src0_sel:WORD_1 src1_sel:DWORD
	v_fma_f16 v6, v46, v8, v6
	v_cvt_f32_f16_e32 v6, v6
	v_mul_f16_sdwa v8, v46, v8 dst_sel:DWORD dst_unused:UNUSED_PAD src0_sel:WORD_1 src1_sel:DWORD
	v_fma_f16 v8, v46, v10, -v8
	v_cvt_f32_f16_e32 v8, v8
	v_cvt_f64_f32_e32 v[6:7], v6
	v_mul_f64 v[6:7], v[6:7], s[2:3]
	v_and_or_b32 v3, v7, s6, v6
	v_cmp_ne_u32_e32 vcc, 0, v3
	v_lshrrev_b32_e32 v6, 8, v7
	v_bfe_u32 v11, v7, 20, 11
	v_cndmask_b32_e64 v3, 0, 1, vcc
	v_and_or_b32 v3, v6, s7, v3
	v_sub_u32_e32 v12, 0x3f1, v11
	v_or_b32_e32 v6, 0x1000, v3
	v_med3_i32 v12, v12, 0, 13
	v_lshrrev_b32_e32 v13, v12, v6
	v_lshlrev_b32_e32 v12, v12, v13
	v_cmp_ne_u32_e32 vcc, v12, v6
	v_add_u32_e32 v11, 0xfffffc10, v11
	v_lshl_or_b32 v12, v11, 12, v3
	v_cndmask_b32_e64 v6, 0, 1, vcc
	v_or_b32_e32 v6, v13, v6
	v_cmp_gt_i32_e32 vcc, 1, v11
	v_and_b32_sdwa v10, v7, s9 dst_sel:DWORD dst_unused:UNUSED_PAD src0_sel:WORD_1 src1_sel:DWORD
	s_nop 0
	v_cndmask_b32_e32 v6, v12, v6, vcc
	v_and_b32_e32 v12, 7, v6
	v_cmp_lt_i32_e32 vcc, 5, v12
	v_cmp_eq_u32_e64 s[0:1], 3, v12
	v_lshrrev_b32_e32 v6, 2, v6
	s_or_b64 vcc, s[0:1], vcc
	v_addc_co_u32_e32 v6, vcc, 0, v6, vcc
	v_cmp_gt_i32_e32 vcc, 31, v11
	s_nop 1
	v_cndmask_b32_e32 v6, v0, v6, vcc
	v_cmp_ne_u32_e32 vcc, 0, v3
	s_nop 1
	v_cndmask_b32_e64 v3, 0, 1, vcc
	v_lshl_or_b32 v3, v3, 9, v0
	v_cmp_eq_u32_e32 vcc, s8, v11
	s_nop 1
	v_cndmask_b32_e32 v3, v6, v3, vcc
	v_cvt_f64_f32_e32 v[6:7], v8
	v_mul_f64 v[6:7], v[6:7], s[2:3]
	v_and_or_b32 v6, v7, s6, v6
	v_cmp_ne_u32_e32 vcc, 0, v6
	v_lshrrev_b32_e32 v8, 8, v7
	v_bfe_u32 v11, v7, 20, 11
	v_cndmask_b32_e64 v6, 0, 1, vcc
	v_and_or_b32 v6, v8, s7, v6
	v_sub_u32_e32 v12, 0x3f1, v11
	v_or_b32_e32 v8, 0x1000, v6
	v_med3_i32 v12, v12, 0, 13
	v_lshrrev_b32_e32 v13, v12, v8
	v_lshlrev_b32_e32 v12, v12, v13
	v_cmp_ne_u32_e32 vcc, v12, v8
	v_add_u32_e32 v11, 0xfffffc10, v11
	v_lshl_or_b32 v12, v11, 12, v6
	v_cndmask_b32_e64 v8, 0, 1, vcc
	v_or_b32_e32 v8, v13, v8
	v_cmp_gt_i32_e32 vcc, 1, v11
	v_lshrrev_b32_e32 v7, 16, v7
	v_bitop3_b32 v3, v10, s10, v3 bitop3:0xc8
	v_cndmask_b32_e32 v8, v12, v8, vcc
	v_and_b32_e32 v12, 7, v8
	v_cmp_lt_i32_e32 vcc, 5, v12
	v_cmp_eq_u32_e64 s[0:1], 3, v12
	v_lshrrev_b32_e32 v8, 2, v8
	s_or_b64 vcc, s[0:1], vcc
	v_addc_co_u32_e32 v8, vcc, 0, v8, vcc
	v_cmp_gt_i32_e32 vcc, 31, v11
	v_mad_u64_u32 v[4:5], s[0:1], s4, v1, v[4:5]
	s_nop 0
	v_cndmask_b32_e32 v8, v0, v8, vcc
	v_cmp_ne_u32_e32 vcc, 0, v6
	v_add_u32_e32 v5, s5, v5
	s_nop 0
	v_cndmask_b32_e64 v6, 0, 1, vcc
	v_lshl_or_b32 v6, v6, 9, v0
	v_cmp_eq_u32_e32 vcc, s8, v11
	s_nop 1
	v_cndmask_b32_e32 v6, v8, v6, vcc
	v_and_or_b32 v6, v7, s9, v6
	v_lshrrev_b32_e32 v8, 16, v9
	v_lshl_or_b32 v3, v6, 16, v3
	v_mul_f16_sdwa v6, v45, v8 dst_sel:DWORD dst_unused:UNUSED_PAD src0_sel:WORD_1 src1_sel:DWORD
	v_fma_f16 v6, v45, v9, v6
	v_cvt_f32_f16_e32 v6, v6
	global_store_dword v[4:5], v3, off
	v_mul_f16_sdwa v9, v45, v9 dst_sel:DWORD dst_unused:UNUSED_PAD src0_sel:WORD_1 src1_sel:DWORD
	v_fma_f16 v8, v45, v8, -v9
	v_cvt_f64_f32_e32 v[6:7], v6
	v_mul_f64 v[6:7], v[6:7], s[2:3]
	v_and_or_b32 v3, v7, s6, v6
	v_cmp_ne_u32_e32 vcc, 0, v3
	v_lshrrev_b32_e32 v6, 8, v7
	v_bfe_u32 v10, v7, 20, 11
	v_cndmask_b32_e64 v3, 0, 1, vcc
	v_and_or_b32 v3, v6, s7, v3
	v_sub_u32_e32 v11, 0x3f1, v10
	v_or_b32_e32 v6, 0x1000, v3
	v_med3_i32 v11, v11, 0, 13
	v_lshrrev_b32_e32 v12, v11, v6
	v_lshlrev_b32_e32 v11, v11, v12
	v_cmp_ne_u32_e32 vcc, v11, v6
	v_add_u32_e32 v10, 0xfffffc10, v10
	v_lshl_or_b32 v11, v10, 12, v3
	v_cndmask_b32_e64 v6, 0, 1, vcc
	v_or_b32_e32 v6, v12, v6
	v_cmp_gt_i32_e32 vcc, 1, v10
	v_cvt_f32_f16_e32 v8, v8
	s_nop 0
	v_cndmask_b32_e32 v6, v11, v6, vcc
	v_and_b32_e32 v11, 7, v6
	v_cmp_lt_i32_e32 vcc, 5, v11
	v_cmp_eq_u32_e64 s[0:1], 3, v11
	v_lshrrev_b32_e32 v6, 2, v6
	s_or_b64 vcc, s[0:1], vcc
	v_addc_co_u32_e32 v6, vcc, 0, v6, vcc
	v_cmp_gt_i32_e32 vcc, 31, v10
	s_nop 1
	v_cndmask_b32_e32 v6, v0, v6, vcc
	v_cmp_ne_u32_e32 vcc, 0, v3
	s_nop 1
	v_cndmask_b32_e64 v3, 0, 1, vcc
	v_lshl_or_b32 v3, v3, 9, v0
	v_cmp_eq_u32_e32 vcc, s8, v10
	v_and_b32_sdwa v10, v7, s9 dst_sel:DWORD dst_unused:UNUSED_PAD src0_sel:WORD_1 src1_sel:DWORD
	s_nop 0
	v_cndmask_b32_e32 v3, v6, v3, vcc
	v_cvt_f64_f32_e32 v[6:7], v8
	v_mul_f64 v[6:7], v[6:7], s[2:3]
	v_and_or_b32 v6, v7, s6, v6
	v_cmp_ne_u32_e32 vcc, 0, v6
	v_lshrrev_b32_e32 v8, 8, v7
	v_bfe_u32 v9, v7, 20, 11
	v_cndmask_b32_e64 v6, 0, 1, vcc
	v_and_or_b32 v6, v8, s7, v6
	v_sub_u32_e32 v11, 0x3f1, v9
	v_or_b32_e32 v8, 0x1000, v6
	v_med3_i32 v11, v11, 0, 13
	v_lshrrev_b32_e32 v12, v11, v8
	v_lshlrev_b32_e32 v11, v11, v12
	v_cmp_ne_u32_e32 vcc, v11, v8
	v_add_u32_e32 v9, 0xfffffc10, v9
	v_lshl_or_b32 v11, v9, 12, v6
	v_cndmask_b32_e64 v8, 0, 1, vcc
	v_or_b32_e32 v8, v12, v8
	v_cmp_gt_i32_e32 vcc, 1, v9
	v_lshrrev_b32_e32 v7, 16, v7
	v_bitop3_b32 v3, v10, s10, v3 bitop3:0xc8
	v_cndmask_b32_e32 v8, v11, v8, vcc
	v_and_b32_e32 v11, 7, v8
	v_cmp_lt_i32_e32 vcc, 5, v11
	v_cmp_eq_u32_e64 s[0:1], 3, v11
	v_lshrrev_b32_e32 v8, 2, v8
	s_or_b64 vcc, s[0:1], vcc
	v_addc_co_u32_e32 v8, vcc, 0, v8, vcc
	v_cmp_gt_i32_e32 vcc, 31, v9
	v_mad_u64_u32 v[4:5], s[0:1], s4, v1, v[4:5]
	s_nop 0
	v_cndmask_b32_e32 v8, v0, v8, vcc
	v_cmp_ne_u32_e32 vcc, 0, v6
	v_add_u32_e32 v5, s5, v5
	s_nop 0
	v_cndmask_b32_e64 v6, 0, 1, vcc
	v_lshl_or_b32 v6, v6, 9, v0
	v_cmp_eq_u32_e32 vcc, s8, v9
	s_nop 1
	v_cndmask_b32_e32 v6, v8, v6, vcc
	ds_read2_b32 v[8:9], v2 offset0:152 offset1:186
	v_and_or_b32 v6, v7, s9, v6
	v_lshl_or_b32 v3, v6, 16, v3
	global_store_dword v[4:5], v3, off
	s_waitcnt lgkmcnt(0)
	v_lshrrev_b32_e32 v10, 16, v8
	v_mul_f16_sdwa v6, v44, v10 dst_sel:DWORD dst_unused:UNUSED_PAD src0_sel:WORD_1 src1_sel:DWORD
	v_fma_f16 v6, v44, v8, v6
	v_cvt_f32_f16_e32 v6, v6
	v_mul_f16_sdwa v8, v44, v8 dst_sel:DWORD dst_unused:UNUSED_PAD src0_sel:WORD_1 src1_sel:DWORD
	v_fma_f16 v8, v44, v10, -v8
	v_cvt_f32_f16_e32 v8, v8
	v_cvt_f64_f32_e32 v[6:7], v6
	v_mul_f64 v[6:7], v[6:7], s[2:3]
	v_and_or_b32 v3, v7, s6, v6
	v_cmp_ne_u32_e32 vcc, 0, v3
	v_lshrrev_b32_e32 v6, 8, v7
	v_bfe_u32 v11, v7, 20, 11
	v_cndmask_b32_e64 v3, 0, 1, vcc
	v_and_or_b32 v3, v6, s7, v3
	v_sub_u32_e32 v12, 0x3f1, v11
	v_or_b32_e32 v6, 0x1000, v3
	v_med3_i32 v12, v12, 0, 13
	v_lshrrev_b32_e32 v13, v12, v6
	v_lshlrev_b32_e32 v12, v12, v13
	v_cmp_ne_u32_e32 vcc, v12, v6
	v_add_u32_e32 v11, 0xfffffc10, v11
	v_lshl_or_b32 v12, v11, 12, v3
	v_cndmask_b32_e64 v6, 0, 1, vcc
	v_or_b32_e32 v6, v13, v6
	v_cmp_gt_i32_e32 vcc, 1, v11
	v_and_b32_sdwa v10, v7, s9 dst_sel:DWORD dst_unused:UNUSED_PAD src0_sel:WORD_1 src1_sel:DWORD
	s_nop 0
	v_cndmask_b32_e32 v6, v12, v6, vcc
	v_and_b32_e32 v12, 7, v6
	v_cmp_lt_i32_e32 vcc, 5, v12
	v_cmp_eq_u32_e64 s[0:1], 3, v12
	v_lshrrev_b32_e32 v6, 2, v6
	s_or_b64 vcc, s[0:1], vcc
	v_addc_co_u32_e32 v6, vcc, 0, v6, vcc
	v_cmp_gt_i32_e32 vcc, 31, v11
	s_nop 1
	v_cndmask_b32_e32 v6, v0, v6, vcc
	v_cmp_ne_u32_e32 vcc, 0, v3
	s_nop 1
	v_cndmask_b32_e64 v3, 0, 1, vcc
	v_lshl_or_b32 v3, v3, 9, v0
	v_cmp_eq_u32_e32 vcc, s8, v11
	s_nop 1
	v_cndmask_b32_e32 v3, v6, v3, vcc
	v_cvt_f64_f32_e32 v[6:7], v8
	v_mul_f64 v[6:7], v[6:7], s[2:3]
	v_and_or_b32 v6, v7, s6, v6
	v_cmp_ne_u32_e32 vcc, 0, v6
	v_lshrrev_b32_e32 v8, 8, v7
	v_bfe_u32 v11, v7, 20, 11
	v_cndmask_b32_e64 v6, 0, 1, vcc
	v_and_or_b32 v6, v8, s7, v6
	v_sub_u32_e32 v12, 0x3f1, v11
	v_or_b32_e32 v8, 0x1000, v6
	v_med3_i32 v12, v12, 0, 13
	v_lshrrev_b32_e32 v13, v12, v8
	v_lshlrev_b32_e32 v12, v12, v13
	v_cmp_ne_u32_e32 vcc, v12, v8
	v_add_u32_e32 v11, 0xfffffc10, v11
	v_lshl_or_b32 v12, v11, 12, v6
	v_cndmask_b32_e64 v8, 0, 1, vcc
	v_or_b32_e32 v8, v13, v8
	v_cmp_gt_i32_e32 vcc, 1, v11
	v_lshrrev_b32_e32 v7, 16, v7
	v_bitop3_b32 v3, v10, s10, v3 bitop3:0xc8
	v_cndmask_b32_e32 v8, v12, v8, vcc
	v_and_b32_e32 v12, 7, v8
	v_cmp_lt_i32_e32 vcc, 5, v12
	v_cmp_eq_u32_e64 s[0:1], 3, v12
	v_lshrrev_b32_e32 v8, 2, v8
	s_or_b64 vcc, s[0:1], vcc
	v_addc_co_u32_e32 v8, vcc, 0, v8, vcc
	v_cmp_gt_i32_e32 vcc, 31, v11
	v_mad_u64_u32 v[4:5], s[0:1], s4, v1, v[4:5]
	s_nop 0
	v_cndmask_b32_e32 v8, v0, v8, vcc
	v_cmp_ne_u32_e32 vcc, 0, v6
	v_add_u32_e32 v5, s5, v5
	s_nop 0
	v_cndmask_b32_e64 v6, 0, 1, vcc
	v_lshl_or_b32 v6, v6, 9, v0
	v_cmp_eq_u32_e32 vcc, s8, v11
	s_nop 1
	v_cndmask_b32_e32 v6, v8, v6, vcc
	v_and_or_b32 v6, v7, s9, v6
	v_lshrrev_b32_e32 v8, 16, v9
	v_lshl_or_b32 v3, v6, 16, v3
	v_mul_f16_sdwa v6, v43, v8 dst_sel:DWORD dst_unused:UNUSED_PAD src0_sel:WORD_1 src1_sel:DWORD
	v_fma_f16 v6, v43, v9, v6
	v_cvt_f32_f16_e32 v6, v6
	global_store_dword v[4:5], v3, off
	v_mul_f16_sdwa v9, v43, v9 dst_sel:DWORD dst_unused:UNUSED_PAD src0_sel:WORD_1 src1_sel:DWORD
	v_fma_f16 v8, v43, v8, -v9
	v_cvt_f64_f32_e32 v[6:7], v6
	v_mul_f64 v[6:7], v[6:7], s[2:3]
	v_and_or_b32 v3, v7, s6, v6
	v_cmp_ne_u32_e32 vcc, 0, v3
	v_lshrrev_b32_e32 v6, 8, v7
	v_bfe_u32 v10, v7, 20, 11
	v_cndmask_b32_e64 v3, 0, 1, vcc
	v_and_or_b32 v3, v6, s7, v3
	v_sub_u32_e32 v11, 0x3f1, v10
	v_or_b32_e32 v6, 0x1000, v3
	v_med3_i32 v11, v11, 0, 13
	v_lshrrev_b32_e32 v12, v11, v6
	v_lshlrev_b32_e32 v11, v11, v12
	v_cmp_ne_u32_e32 vcc, v11, v6
	v_add_u32_e32 v10, 0xfffffc10, v10
	v_lshl_or_b32 v11, v10, 12, v3
	v_cndmask_b32_e64 v6, 0, 1, vcc
	v_or_b32_e32 v6, v12, v6
	v_cmp_gt_i32_e32 vcc, 1, v10
	v_cvt_f32_f16_e32 v8, v8
	s_nop 0
	v_cndmask_b32_e32 v6, v11, v6, vcc
	v_and_b32_e32 v11, 7, v6
	v_cmp_lt_i32_e32 vcc, 5, v11
	v_cmp_eq_u32_e64 s[0:1], 3, v11
	v_lshrrev_b32_e32 v6, 2, v6
	s_or_b64 vcc, s[0:1], vcc
	v_addc_co_u32_e32 v6, vcc, 0, v6, vcc
	v_cmp_gt_i32_e32 vcc, 31, v10
	s_nop 1
	v_cndmask_b32_e32 v6, v0, v6, vcc
	v_cmp_ne_u32_e32 vcc, 0, v3
	s_nop 1
	v_cndmask_b32_e64 v3, 0, 1, vcc
	v_lshl_or_b32 v3, v3, 9, v0
	v_cmp_eq_u32_e32 vcc, s8, v10
	v_and_b32_sdwa v10, v7, s9 dst_sel:DWORD dst_unused:UNUSED_PAD src0_sel:WORD_1 src1_sel:DWORD
	s_nop 0
	v_cndmask_b32_e32 v9, v6, v3, vcc
	v_cvt_f64_f32_e32 v[6:7], v8
	v_mul_f64 v[6:7], v[6:7], s[2:3]
	v_and_or_b32 v3, v7, s6, v6
	v_cmp_ne_u32_e32 vcc, 0, v3
	v_lshrrev_b32_e32 v6, 8, v7
	v_bfe_u32 v8, v7, 20, 11
	v_cndmask_b32_e64 v3, 0, 1, vcc
	v_and_or_b32 v3, v6, s7, v3
	v_sub_u32_e32 v11, 0x3f1, v8
	v_or_b32_e32 v6, 0x1000, v3
	v_med3_i32 v11, v11, 0, 13
	v_lshrrev_b32_e32 v12, v11, v6
	v_lshlrev_b32_e32 v11, v11, v12
	v_cmp_ne_u32_e32 vcc, v11, v6
	v_add_u32_e32 v8, 0xfffffc10, v8
	v_lshl_or_b32 v11, v8, 12, v3
	v_cndmask_b32_e64 v6, 0, 1, vcc
	v_or_b32_e32 v6, v12, v6
	v_cmp_gt_i32_e32 vcc, 1, v8
	v_lshrrev_b32_e32 v7, 16, v7
	s_nop 0
	v_cndmask_b32_e32 v6, v11, v6, vcc
	v_and_b32_e32 v11, 7, v6
	v_cmp_lt_i32_e32 vcc, 5, v11
	v_cmp_eq_u32_e64 s[0:1], 3, v11
	v_lshrrev_b32_e32 v6, 2, v6
	s_or_b64 vcc, s[0:1], vcc
	v_addc_co_u32_e32 v6, vcc, 0, v6, vcc
	v_cmp_gt_i32_e32 vcc, 31, v8
	v_mad_u64_u32 v[4:5], s[0:1], s4, v1, v[4:5]
	s_nop 0
	v_cndmask_b32_e32 v6, v0, v6, vcc
	v_cmp_ne_u32_e32 vcc, 0, v3
	v_add_u32_e32 v5, s5, v5
	s_nop 0
	v_cndmask_b32_e64 v3, 0, 1, vcc
	v_lshl_or_b32 v3, v3, 9, v0
	v_cmp_eq_u32_e32 vcc, s8, v8
	s_nop 1
	v_cndmask_b32_e32 v6, v6, v3, vcc
	ds_read2_b32 v[2:3], v2 offset0:220 offset1:254
	v_and_or_b32 v6, v7, s9, v6
	v_bitop3_b32 v7, v10, s10, v9 bitop3:0xc8
	v_lshl_or_b32 v6, v6, 16, v7
	global_store_dword v[4:5], v6, off
	s_waitcnt lgkmcnt(0)
	v_lshrrev_b32_e32 v8, 16, v2
	v_mul_f16_sdwa v7, v42, v8 dst_sel:DWORD dst_unused:UNUSED_PAD src0_sel:WORD_1 src1_sel:DWORD
	v_fma_f16 v7, v42, v2, v7
	v_cvt_f32_f16_e32 v7, v7
	v_mul_f16_sdwa v2, v42, v2 dst_sel:DWORD dst_unused:UNUSED_PAD src0_sel:WORD_1 src1_sel:DWORD
	v_fma_f16 v2, v42, v8, -v2
	v_cvt_f32_f16_e32 v2, v2
	v_cvt_f64_f32_e32 v[6:7], v7
	v_mul_f64 v[6:7], v[6:7], s[2:3]
	v_and_or_b32 v6, v7, s6, v6
	v_cmp_ne_u32_e32 vcc, 0, v6
	v_lshrrev_b32_e32 v9, 8, v7
	v_bfe_u32 v10, v7, 20, 11
	v_cndmask_b32_e64 v6, 0, 1, vcc
	v_and_or_b32 v6, v9, s7, v6
	v_sub_u32_e32 v11, 0x3f1, v10
	v_or_b32_e32 v9, 0x1000, v6
	v_med3_i32 v11, v11, 0, 13
	v_lshrrev_b32_e32 v12, v11, v9
	v_lshlrev_b32_e32 v11, v11, v12
	v_cmp_ne_u32_e32 vcc, v11, v9
	v_add_u32_e32 v10, 0xfffffc10, v10
	v_lshl_or_b32 v11, v10, 12, v6
	v_cndmask_b32_e64 v9, 0, 1, vcc
	v_or_b32_e32 v9, v12, v9
	v_cmp_gt_i32_e32 vcc, 1, v10
	s_nop 1
	v_cndmask_b32_e32 v9, v11, v9, vcc
	v_and_b32_e32 v11, 7, v9
	v_cmp_lt_i32_e32 vcc, 5, v11
	v_cmp_eq_u32_e64 s[0:1], 3, v11
	v_lshrrev_b32_e32 v9, 2, v9
	s_or_b64 vcc, s[0:1], vcc
	v_addc_co_u32_e32 v9, vcc, 0, v9, vcc
	v_cmp_gt_i32_e32 vcc, 31, v10
	s_nop 1
	v_cndmask_b32_e32 v9, v0, v9, vcc
	v_cmp_ne_u32_e32 vcc, 0, v6
	s_nop 1
	v_cndmask_b32_e64 v6, 0, 1, vcc
	v_lshl_or_b32 v6, v6, 9, v0
	v_cmp_eq_u32_e32 vcc, s8, v10
	s_nop 1
	v_cndmask_b32_e32 v8, v9, v6, vcc
	v_and_b32_sdwa v9, v7, s9 dst_sel:DWORD dst_unused:UNUSED_PAD src0_sel:WORD_1 src1_sel:DWORD
	v_cvt_f64_f32_e32 v[6:7], v2
	v_mul_f64 v[6:7], v[6:7], s[2:3]
	v_and_or_b32 v2, v7, s6, v6
	v_cmp_ne_u32_e32 vcc, 0, v2
	v_lshrrev_b32_e32 v6, 8, v7
	v_bfe_u32 v10, v7, 20, 11
	v_cndmask_b32_e64 v2, 0, 1, vcc
	v_and_or_b32 v2, v6, s7, v2
	v_sub_u32_e32 v11, 0x3f1, v10
	v_or_b32_e32 v6, 0x1000, v2
	v_med3_i32 v11, v11, 0, 13
	v_lshrrev_b32_e32 v12, v11, v6
	v_lshlrev_b32_e32 v11, v11, v12
	v_cmp_ne_u32_e32 vcc, v11, v6
	v_add_u32_e32 v10, 0xfffffc10, v10
	v_lshl_or_b32 v11, v10, 12, v2
	v_cndmask_b32_e64 v6, 0, 1, vcc
	v_or_b32_e32 v6, v12, v6
	v_cmp_gt_i32_e32 vcc, 1, v10
	s_nop 1
	v_cndmask_b32_e32 v6, v11, v6, vcc
	v_and_b32_e32 v11, 7, v6
	v_cmp_lt_i32_e32 vcc, 5, v11
	v_cmp_eq_u32_e64 s[0:1], 3, v11
	v_lshrrev_b32_e32 v6, 2, v6
	s_or_b64 vcc, s[0:1], vcc
	v_addc_co_u32_e32 v6, vcc, 0, v6, vcc
	v_cmp_gt_i32_e32 vcc, 31, v10
	v_mad_u64_u32 v[4:5], s[0:1], s4, v1, v[4:5]
	s_nop 0
	v_cndmask_b32_e32 v6, v0, v6, vcc
	v_cmp_ne_u32_e32 vcc, 0, v2
	v_add_u32_e32 v5, s5, v5
	s_nop 0
	v_cndmask_b32_e64 v2, 0, 1, vcc
	v_lshl_or_b32 v2, v2, 9, v0
	v_cmp_eq_u32_e32 vcc, s8, v10
	s_nop 1
	v_cndmask_b32_e32 v2, v6, v2, vcc
	v_lshrrev_b32_e32 v6, 16, v7
	v_and_or_b32 v2, v6, s9, v2
	v_bitop3_b32 v6, v9, s10, v8 bitop3:0xc8
	v_lshrrev_b32_e32 v8, 16, v3
	v_lshl_or_b32 v2, v2, 16, v6
	v_mul_f16_sdwa v6, v41, v8 dst_sel:DWORD dst_unused:UNUSED_PAD src0_sel:WORD_1 src1_sel:DWORD
	v_fma_f16 v6, v41, v3, v6
	v_cvt_f32_f16_e32 v6, v6
	global_store_dword v[4:5], v2, off
	v_mul_f16_sdwa v3, v41, v3 dst_sel:DWORD dst_unused:UNUSED_PAD src0_sel:WORD_1 src1_sel:DWORD
	v_fma_f16 v3, v41, v8, -v3
	v_cvt_f64_f32_e32 v[6:7], v6
	v_mul_f64 v[6:7], v[6:7], s[2:3]
	v_and_or_b32 v2, v7, s6, v6
	v_cmp_ne_u32_e32 vcc, 0, v2
	v_lshrrev_b32_e32 v6, 8, v7
	v_bfe_u32 v9, v7, 20, 11
	v_cndmask_b32_e64 v2, 0, 1, vcc
	v_and_or_b32 v2, v6, s7, v2
	v_sub_u32_e32 v10, 0x3f1, v9
	v_or_b32_e32 v6, 0x1000, v2
	v_med3_i32 v10, v10, 0, 13
	v_lshrrev_b32_e32 v11, v10, v6
	v_lshlrev_b32_e32 v10, v10, v11
	v_cmp_ne_u32_e32 vcc, v10, v6
	v_add_u32_e32 v9, 0xfffffc10, v9
	v_lshl_or_b32 v10, v9, 12, v2
	v_cndmask_b32_e64 v6, 0, 1, vcc
	v_or_b32_e32 v6, v11, v6
	v_cmp_gt_i32_e32 vcc, 1, v9
	v_cvt_f32_f16_e32 v3, v3
	v_and_b32_sdwa v7, v7, s9 dst_sel:DWORD dst_unused:UNUSED_PAD src0_sel:WORD_1 src1_sel:DWORD
	v_cndmask_b32_e32 v6, v10, v6, vcc
	v_and_b32_e32 v10, 7, v6
	v_cmp_lt_i32_e32 vcc, 5, v10
	v_cmp_eq_u32_e64 s[0:1], 3, v10
	v_lshrrev_b32_e32 v6, 2, v6
	s_or_b64 vcc, s[0:1], vcc
	v_addc_co_u32_e32 v6, vcc, 0, v6, vcc
	v_cmp_gt_i32_e32 vcc, 31, v9
	s_nop 1
	v_cndmask_b32_e32 v6, v0, v6, vcc
	v_cmp_ne_u32_e32 vcc, 0, v2
	s_nop 1
	v_cndmask_b32_e64 v2, 0, 1, vcc
	v_lshl_or_b32 v2, v2, 9, v0
	v_cmp_eq_u32_e32 vcc, s8, v9
	s_nop 1
	v_cndmask_b32_e32 v6, v6, v2, vcc
	v_cvt_f64_f32_e32 v[2:3], v3
	v_mul_f64 v[2:3], v[2:3], s[2:3]
	v_and_or_b32 v2, v3, s6, v2
	v_cmp_ne_u32_e32 vcc, 0, v2
	v_lshrrev_b32_e32 v8, 8, v3
	v_bfe_u32 v9, v3, 20, 11
	v_cndmask_b32_e64 v2, 0, 1, vcc
	v_and_or_b32 v2, v8, s7, v2
	v_sub_u32_e32 v10, 0x3f1, v9
	v_or_b32_e32 v8, 0x1000, v2
	v_med3_i32 v10, v10, 0, 13
	v_lshrrev_b32_e32 v11, v10, v8
	v_lshlrev_b32_e32 v10, v10, v11
	v_cmp_ne_u32_e32 vcc, v10, v8
	v_add_u32_e32 v9, 0xfffffc10, v9
	v_lshl_or_b32 v10, v9, 12, v2
	v_cndmask_b32_e64 v8, 0, 1, vcc
	v_or_b32_e32 v8, v11, v8
	v_cmp_gt_i32_e32 vcc, 1, v9
	v_lshrrev_b32_e32 v3, 16, v3
	s_nop 0
	v_cndmask_b32_e32 v8, v10, v8, vcc
	v_and_b32_e32 v10, 7, v8
	v_cmp_lt_i32_e32 vcc, 5, v10
	v_cmp_eq_u32_e64 s[0:1], 3, v10
	v_lshrrev_b32_e32 v8, 2, v8
	s_or_b64 vcc, s[0:1], vcc
	v_addc_co_u32_e32 v8, vcc, 0, v8, vcc
	v_cmp_gt_i32_e32 vcc, 31, v9
	s_nop 1
	v_cndmask_b32_e32 v8, v0, v8, vcc
	v_cmp_ne_u32_e32 vcc, 0, v2
	s_nop 1
	v_cndmask_b32_e64 v2, 0, 1, vcc
	v_lshl_or_b32 v2, v2, 9, v0
	v_cmp_eq_u32_e32 vcc, s8, v9
	s_nop 1
	v_cndmask_b32_e32 v2, v8, v2, vcc
	ds_read_b32 v8, v19 offset:2176
	v_and_or_b32 v2, v3, s9, v2
	v_bitop3_b32 v3, v7, s10, v6 bitop3:0xc8
	v_lshl_or_b32 v6, v2, 16, v3
	s_waitcnt lgkmcnt(0)
	v_lshrrev_b32_e32 v7, 16, v8
	v_mul_f16_sdwa v2, v40, v7 dst_sel:DWORD dst_unused:UNUSED_PAD src0_sel:WORD_1 src1_sel:DWORD
	v_fma_f16 v2, v40, v8, v2
	v_cvt_f32_f16_e32 v9, v2
	v_mad_u64_u32 v[2:3], s[0:1], s4, v1, v[4:5]
	v_add_u32_e32 v3, s5, v3
	v_cvt_f64_f32_e32 v[4:5], v9
	v_mul_f64 v[4:5], v[4:5], s[2:3]
	v_and_or_b32 v4, v5, s6, v4
	v_cmp_ne_u32_e32 vcc, 0, v4
	global_store_dword v[2:3], v6, off
	v_lshrrev_b32_e32 v6, 8, v5
	v_cndmask_b32_e64 v4, 0, 1, vcc
	v_bfe_u32 v9, v5, 20, 11
	v_and_or_b32 v4, v6, s7, v4
	v_sub_u32_e32 v10, 0x3f1, v9
	v_or_b32_e32 v6, 0x1000, v4
	v_med3_i32 v10, v10, 0, 13
	v_lshrrev_b32_e32 v11, v10, v6
	v_lshlrev_b32_e32 v10, v10, v11
	v_cmp_ne_u32_e32 vcc, v10, v6
	v_add_u32_e32 v9, 0xfffffc10, v9
	v_lshl_or_b32 v10, v9, 12, v4
	v_cndmask_b32_e64 v6, 0, 1, vcc
	v_or_b32_e32 v6, v11, v6
	v_cmp_gt_i32_e32 vcc, 1, v9
	v_mul_f16_sdwa v8, v40, v8 dst_sel:DWORD dst_unused:UNUSED_PAD src0_sel:WORD_1 src1_sel:DWORD
	v_fma_f16 v7, v40, v7, -v8
	v_cndmask_b32_e32 v6, v10, v6, vcc
	v_and_b32_e32 v10, 7, v6
	v_cmp_lt_i32_e32 vcc, 5, v10
	v_cmp_eq_u32_e64 s[0:1], 3, v10
	v_lshrrev_b32_e32 v6, 2, v6
	s_or_b64 vcc, s[0:1], vcc
	v_addc_co_u32_e32 v6, vcc, 0, v6, vcc
	v_cmp_gt_i32_e32 vcc, 31, v9
	v_cvt_f32_f16_e32 v7, v7
	v_and_b32_sdwa v8, v5, s9 dst_sel:DWORD dst_unused:UNUSED_PAD src0_sel:WORD_1 src1_sel:DWORD
	v_cndmask_b32_e32 v6, v0, v6, vcc
	v_cmp_ne_u32_e32 vcc, 0, v4
	s_nop 1
	v_cndmask_b32_e64 v4, 0, 1, vcc
	v_lshl_or_b32 v4, v4, 9, v0
	v_cmp_eq_u32_e32 vcc, s8, v9
	s_nop 1
	v_cndmask_b32_e32 v6, v6, v4, vcc
	v_cvt_f64_f32_e32 v[4:5], v7
	v_mul_f64 v[4:5], v[4:5], s[2:3]
	v_and_or_b32 v4, v5, s6, v4
	v_cmp_ne_u32_e32 vcc, 0, v4
	v_lshrrev_b32_e32 v7, 8, v5
	v_bfe_u32 v9, v5, 20, 11
	v_cndmask_b32_e64 v4, 0, 1, vcc
	v_and_or_b32 v4, v7, s7, v4
	v_sub_u32_e32 v10, 0x3f1, v9
	v_or_b32_e32 v7, 0x1000, v4
	v_med3_i32 v10, v10, 0, 13
	v_lshrrev_b32_e32 v11, v10, v7
	v_lshlrev_b32_e32 v10, v10, v11
	v_cmp_ne_u32_e32 vcc, v10, v7
	v_add_u32_e32 v9, 0xfffffc10, v9
	v_lshl_or_b32 v10, v9, 12, v4
	v_cndmask_b32_e64 v7, 0, 1, vcc
	v_or_b32_e32 v7, v11, v7
	v_cmp_gt_i32_e32 vcc, 1, v9
	s_nop 1
	v_cndmask_b32_e32 v7, v10, v7, vcc
	v_and_b32_e32 v10, 7, v7
	v_cmp_lt_i32_e32 vcc, 5, v10
	v_cmp_eq_u32_e64 s[0:1], 3, v10
	v_lshrrev_b32_e32 v7, 2, v7
	s_or_b64 vcc, s[0:1], vcc
	v_addc_co_u32_e32 v7, vcc, 0, v7, vcc
	v_cmp_gt_i32_e32 vcc, 31, v9
	s_nop 1
	v_cndmask_b32_e32 v7, v0, v7, vcc
	v_cmp_ne_u32_e32 vcc, 0, v4
	s_nop 1
	v_cndmask_b32_e64 v4, 0, 1, vcc
	v_lshl_or_b32 v0, v4, 9, v0
	v_cmp_eq_u32_e32 vcc, s8, v9
	v_lshrrev_b32_e32 v4, 16, v5
	s_nop 0
	v_cndmask_b32_e32 v0, v7, v0, vcc
	v_and_or_b32 v0, v4, s9, v0
	v_bitop3_b32 v4, v8, s10, v6 bitop3:0xc8
	v_lshl_or_b32 v4, v0, 16, v4
	v_mad_u64_u32 v[0:1], s[0:1], s4, v1, v[2:3]
	v_add_u32_e32 v1, s5, v1
	global_store_dword v[0:1], v4, off
.LBB0_10:
	s_endpgm
	.section	.rodata,"a",@progbits
	.p2align	6, 0x0
	.amdhsa_kernel bluestein_single_fwd_len578_dim1_half_op_CI_CI
		.amdhsa_group_segment_fixed_size 16184
		.amdhsa_private_segment_fixed_size 0
		.amdhsa_kernarg_size 104
		.amdhsa_user_sgpr_count 2
		.amdhsa_user_sgpr_dispatch_ptr 0
		.amdhsa_user_sgpr_queue_ptr 0
		.amdhsa_user_sgpr_kernarg_segment_ptr 1
		.amdhsa_user_sgpr_dispatch_id 0
		.amdhsa_user_sgpr_kernarg_preload_length 0
		.amdhsa_user_sgpr_kernarg_preload_offset 0
		.amdhsa_user_sgpr_private_segment_size 0
		.amdhsa_uses_dynamic_stack 0
		.amdhsa_enable_private_segment 0
		.amdhsa_system_sgpr_workgroup_id_x 1
		.amdhsa_system_sgpr_workgroup_id_y 0
		.amdhsa_system_sgpr_workgroup_id_z 0
		.amdhsa_system_sgpr_workgroup_info 0
		.amdhsa_system_vgpr_workitem_id 0
		.amdhsa_next_free_vgpr 110
		.amdhsa_next_free_sgpr 31
		.amdhsa_accum_offset 112
		.amdhsa_reserve_vcc 1
		.amdhsa_float_round_mode_32 0
		.amdhsa_float_round_mode_16_64 0
		.amdhsa_float_denorm_mode_32 3
		.amdhsa_float_denorm_mode_16_64 3
		.amdhsa_dx10_clamp 1
		.amdhsa_ieee_mode 1
		.amdhsa_fp16_overflow 0
		.amdhsa_tg_split 0
		.amdhsa_exception_fp_ieee_invalid_op 0
		.amdhsa_exception_fp_denorm_src 0
		.amdhsa_exception_fp_ieee_div_zero 0
		.amdhsa_exception_fp_ieee_overflow 0
		.amdhsa_exception_fp_ieee_underflow 0
		.amdhsa_exception_fp_ieee_inexact 0
		.amdhsa_exception_int_div_zero 0
	.end_amdhsa_kernel
	.text
.Lfunc_end0:
	.size	bluestein_single_fwd_len578_dim1_half_op_CI_CI, .Lfunc_end0-bluestein_single_fwd_len578_dim1_half_op_CI_CI
                                        ; -- End function
	.section	.AMDGPU.csdata,"",@progbits
; Kernel info:
; codeLenInByte = 34160
; NumSgprs: 37
; NumVgprs: 110
; NumAgprs: 0
; TotalNumVgprs: 110
; ScratchSize: 0
; MemoryBound: 0
; FloatMode: 240
; IeeeMode: 1
; LDSByteSize: 16184 bytes/workgroup (compile time only)
; SGPRBlocks: 4
; VGPRBlocks: 13
; NumSGPRsForWavesPerEU: 37
; NumVGPRsForWavesPerEU: 110
; AccumOffset: 112
; Occupancy: 4
; WaveLimiterHint : 1
; COMPUTE_PGM_RSRC2:SCRATCH_EN: 0
; COMPUTE_PGM_RSRC2:USER_SGPR: 2
; COMPUTE_PGM_RSRC2:TRAP_HANDLER: 0
; COMPUTE_PGM_RSRC2:TGID_X_EN: 1
; COMPUTE_PGM_RSRC2:TGID_Y_EN: 0
; COMPUTE_PGM_RSRC2:TGID_Z_EN: 0
; COMPUTE_PGM_RSRC2:TIDIG_COMP_CNT: 0
; COMPUTE_PGM_RSRC3_GFX90A:ACCUM_OFFSET: 27
; COMPUTE_PGM_RSRC3_GFX90A:TG_SPLIT: 0
	.text
	.p2alignl 6, 3212836864
	.fill 256, 4, 3212836864
	.type	__hip_cuid_4df90252307e0879,@object ; @__hip_cuid_4df90252307e0879
	.section	.bss,"aw",@nobits
	.globl	__hip_cuid_4df90252307e0879
__hip_cuid_4df90252307e0879:
	.byte	0                               ; 0x0
	.size	__hip_cuid_4df90252307e0879, 1

	.ident	"AMD clang version 19.0.0git (https://github.com/RadeonOpenCompute/llvm-project roc-6.4.0 25133 c7fe45cf4b819c5991fe208aaa96edf142730f1d)"
	.section	".note.GNU-stack","",@progbits
	.addrsig
	.addrsig_sym __hip_cuid_4df90252307e0879
	.amdgpu_metadata
---
amdhsa.kernels:
  - .agpr_count:     0
    .args:
      - .actual_access:  read_only
        .address_space:  global
        .offset:         0
        .size:           8
        .value_kind:     global_buffer
      - .actual_access:  read_only
        .address_space:  global
        .offset:         8
        .size:           8
        .value_kind:     global_buffer
      - .actual_access:  read_only
        .address_space:  global
        .offset:         16
        .size:           8
        .value_kind:     global_buffer
      - .actual_access:  read_only
        .address_space:  global
        .offset:         24
        .size:           8
        .value_kind:     global_buffer
      - .actual_access:  read_only
        .address_space:  global
        .offset:         32
        .size:           8
        .value_kind:     global_buffer
      - .offset:         40
        .size:           8
        .value_kind:     by_value
      - .address_space:  global
        .offset:         48
        .size:           8
        .value_kind:     global_buffer
      - .address_space:  global
        .offset:         56
        .size:           8
        .value_kind:     global_buffer
      - .address_space:  global
        .offset:         64
        .size:           8
        .value_kind:     global_buffer
      - .address_space:  global
        .offset:         72
        .size:           8
        .value_kind:     global_buffer
      - .offset:         80
        .size:           4
        .value_kind:     by_value
      - .address_space:  global
        .offset:         88
        .size:           8
        .value_kind:     global_buffer
      - .address_space:  global
        .offset:         96
        .size:           8
        .value_kind:     global_buffer
    .group_segment_fixed_size: 16184
    .kernarg_segment_align: 8
    .kernarg_segment_size: 104
    .language:       OpenCL C
    .language_version:
      - 2
      - 0
    .max_flat_workgroup_size: 238
    .name:           bluestein_single_fwd_len578_dim1_half_op_CI_CI
    .private_segment_fixed_size: 0
    .sgpr_count:     37
    .sgpr_spill_count: 0
    .symbol:         bluestein_single_fwd_len578_dim1_half_op_CI_CI.kd
    .uniform_work_group_size: 1
    .uses_dynamic_stack: false
    .vgpr_count:     110
    .vgpr_spill_count: 0
    .wavefront_size: 64
amdhsa.target:   amdgcn-amd-amdhsa--gfx950
amdhsa.version:
  - 1
  - 2
...

	.end_amdgpu_metadata
